;; amdgpu-corpus repo=ROCm/rocFFT kind=compiled arch=gfx950 opt=O3
	.text
	.amdgcn_target "amdgcn-amd-amdhsa--gfx950"
	.amdhsa_code_object_version 6
	.protected	bluestein_single_fwd_len784_dim1_sp_op_CI_CI ; -- Begin function bluestein_single_fwd_len784_dim1_sp_op_CI_CI
	.globl	bluestein_single_fwd_len784_dim1_sp_op_CI_CI
	.p2align	8
	.type	bluestein_single_fwd_len784_dim1_sp_op_CI_CI,@function
bluestein_single_fwd_len784_dim1_sp_op_CI_CI: ; @bluestein_single_fwd_len784_dim1_sp_op_CI_CI
; %bb.0:
	s_load_dwordx4 s[16:19], s[0:1], 0x28
	v_mul_u32_u24_e32 v1, 0x493, v0
	v_add_u32_sdwa v52, s2, v1 dst_sel:DWORD dst_unused:UNUSED_PAD src0_sel:DWORD src1_sel:WORD_1
	v_mov_b32_e32 v53, 0
	s_waitcnt lgkmcnt(0)
	v_cmp_gt_u64_e32 vcc, s[16:17], v[52:53]
	s_and_saveexec_b64 s[2:3], vcc
	s_cbranch_execz .LBB0_2
; %bb.1:
	s_load_dwordx4 s[12:15], s[0:1], 0x18
	s_load_dwordx4 s[8:11], s[0:1], 0x0
	v_mov_b32_e32 v2, s18
	v_mov_b32_e32 v3, s19
	;; [unrolled: 1-line block ×3, first 2 shown]
	s_waitcnt lgkmcnt(0)
	s_load_dwordx4 s[4:7], s[14:15], 0x0
	v_mov_b32_e32 v103, 0x1c0
	s_load_dwordx4 s[12:15], s[12:13], 0x0
	s_mov_b32 s16, 0x3eae86e6
	s_mov_b32 s17, 0xbf08b237
	s_waitcnt lgkmcnt(0)
	v_mad_u64_u32 v[56:57], s[2:3], s6, v52, 0
	v_mad_u64_u32 v[4:5], s[2:3], s14, v52, 0
	v_mov_b32_e32 v6, v57
	v_mad_u64_u32 v[66:67], s[2:3], s7, v52, v[6:7]
	v_mov_b32_e32 v6, v5
	v_mad_u64_u32 v[6:7], s[2:3], s15, v52, v[6:7]
	v_mov_b32_e32 v5, v6
	v_mov_b32_e32 v6, 56
	v_mul_lo_u16_sdwa v1, v1, v6 dst_sel:DWORD dst_unused:UNUSED_PAD src0_sel:WORD_1 src1_sel:DWORD
	v_sub_u16_e32 v104, v0, v1
	v_mad_u64_u32 v[0:1], s[2:3], s12, v104, 0
	v_mov_b32_e32 v6, v1
	v_mad_u64_u32 v[6:7], s[2:3], s13, v104, v[6:7]
	v_mov_b32_e32 v1, v6
	v_lshl_add_u64 v[2:3], v[4:5], 3, v[2:3]
	v_lshl_add_u64 v[4:5], v[0:1], 3, v[2:3]
	v_mov_b32_e32 v67, 0xc40
	global_load_dwordx2 v[0:1], v[4:5], off
	v_mad_u64_u32 v[4:5], s[2:3], s12, v67, v[4:5]
	s_mul_i32 s2, s13, 0xc40
	s_nop 0
	v_add_u32_e32 v5, s2, v5
	s_mul_i32 s3, s13, 0xfffff580
	v_lshlrev_b32_e32 v52, 3, v104
	v_mad_u64_u32 v[6:7], s[6:7], s12, v102, v[4:5]
	s_sub_i32 s3, s3, s12
	v_or_b32_e32 v105, 0x1c0, v104
	global_load_dwordx2 v[72:73], v52, s[8:9]
	global_load_dwordx2 v[62:63], v52, s[8:9] offset:3136
	v_add_u32_e32 v7, s3, v7
	global_load_dwordx2 v[8:9], v[4:5], off
	global_load_dwordx2 v[10:11], v[6:7], off
	v_mad_u64_u32 v[4:5], s[6:7], s12, v105, 0
	v_mov_b32_e32 v12, v5
	v_mad_u64_u32 v[12:13], s[6:7], s13, v105, v[12:13]
	v_mov_b32_e32 v5, v12
	s_mul_i32 s15, s13, 0x1c0
	v_lshl_add_u64 v[2:3], v[4:5], 3, v[2:3]
	v_mad_u64_u32 v[4:5], s[6:7], s12, v103, v[6:7]
	v_add_u32_e32 v5, s15, v5
	v_mad_u64_u32 v[6:7], s[6:7], s12, v67, v[4:5]
	v_add_u32_e32 v7, s2, v7
	global_load_dwordx2 v[80:81], v52, s[8:9] offset:3584
	global_load_dwordx2 v[68:69], v52, s[8:9] offset:4032
	;; [unrolled: 1-line block ×6, first 2 shown]
	s_movk_i32 s14, 0x1000
	global_load_dwordx2 v[2:3], v[2:3], off
	s_nop 0
	global_load_dwordx2 v[12:13], v[4:5], off
	global_load_dwordx2 v[14:15], v[6:7], off
	v_mad_u64_u32 v[4:5], s[6:7], s12, v102, v[6:7]
	v_add_u32_e32 v5, s3, v5
	v_lshl_add_u64 v[88:89], s[8:9], 0, v[52:53]
	global_load_dwordx2 v[6:7], v[4:5], off
	v_mad_u64_u32 v[4:5], s[6:7], s12, v67, v[4:5]
	v_add_co_u32_e32 v94, vcc, s14, v88
	v_add_u32_e32 v5, s2, v5
	s_nop 0
	v_addc_co_u32_e32 v95, vcc, 0, v89, vcc
	global_load_dwordx2 v[16:17], v[4:5], off
	global_load_dwordx2 v[82:83], v[94:95], off offset:384
	v_mad_u64_u32 v[4:5], s[6:7], s12, v102, v[4:5]
	v_add_u32_e32 v5, s3, v5
	global_load_dwordx2 v[18:19], v[4:5], off
	v_mad_u64_u32 v[4:5], s[6:7], s12, v67, v[4:5]
	v_add_u32_e32 v5, s2, v5
	global_load_dwordx2 v[20:21], v[4:5], off
	global_load_dwordx2 v[78:79], v[94:95], off offset:832
	global_load_dwordx2 v[76:77], v52, s[8:9] offset:2240
	v_mad_u64_u32 v[4:5], s[6:7], s12, v102, v[4:5]
	v_add_u32_e32 v5, s3, v5
	global_load_dwordx2 v[22:23], v[4:5], off
	global_load_dwordx2 v[60:61], v52, s[8:9] offset:2688
	v_mad_u64_u32 v[4:5], s[6:7], s12, v67, v[4:5]
	v_add_u32_e32 v5, s2, v5
	global_load_dwordx2 v[24:25], v[4:5], off
	global_load_dwordx2 v[70:71], v[94:95], off offset:1280
	v_mad_u64_u32 v[4:5], s[6:7], s12, v102, v[4:5]
	v_add_u32_e32 v5, s3, v5
	global_load_dwordx2 v[26:27], v[4:5], off
	v_mad_u64_u32 v[4:5], s[6:7], s12, v67, v[4:5]
	v_add_u32_e32 v5, s2, v5
	global_load_dwordx2 v[28:29], v[4:5], off
	global_load_dwordx2 v[64:65], v[94:95], off offset:1728
	v_add_u32_e32 v107, 0x800, v52
	v_add_u32_e32 v53, 0x1000, v52
	v_add_u32_e32 v106, 0x400, v52
	v_lshlrev_b32_e32 v40, 1, v104
	v_lshlrev_b32_e32 v108, 4, v104
	;; [unrolled: 1-line block ×3, first 2 shown]
	v_and_b32_e32 v41, 1, v104
	s_movk_i32 s2, 0x7c
	v_add_u32_e32 v48, 56, v104
	v_lshlrev_b32_e32 v42, 1, v48
	v_add_u32_e32 v43, 0xe0, v40
	v_add_u32_e32 v44, 0x150, v40
	;; [unrolled: 1-line block ×3, first 2 shown]
	s_movk_i32 s3, 0x2fc
	v_add_u32_e32 v46, 0x230, v40
	v_add_u32_e32 v47, 0x2a0, v40
	v_and_b32_e32 v49, 15, v48
	v_and_b32_e32 v150, 15, v104
	s_mov_b32 s18, s17
	s_mov_b32 s19, s16
	;; [unrolled: 1-line block ×3, first 2 shown]
	s_waitcnt vmcnt(26)
	v_mul_f32_e32 v4, v1, v73
	v_mul_f32_e32 v5, v0, v73
	v_fmac_f32_e32 v4, v0, v72
	v_fma_f32 v5, v1, v72, -v5
	s_waitcnt vmcnt(24)
	v_mul_f32_e32 v0, v9, v63
	v_mul_f32_e32 v1, v8, v63
	v_fmac_f32_e32 v0, v8, v62
	v_fma_f32 v1, v9, v62, -v1
	ds_write_b64 v52, v[0:1] offset:3136
	s_mov_b32 s9, 0x3f4a47b2
	s_mov_b32 s6, 0x3f955555
	;; [unrolled: 1-line block ×5, first 2 shown]
	s_load_dwordx2 s[0:1], s[0:1], 0x38
	s_waitcnt vmcnt(20)
	v_mul_f32_e32 v0, v11, v85
	v_mul_f32_e32 v1, v10, v85
	v_fmac_f32_e32 v0, v10, v84
	v_fma_f32 v1, v11, v84, -v1
	ds_write2_b64 v52, v[4:5], v[0:1] offset1:56
	s_waitcnt vmcnt(16)
	v_mul_f32_e32 v0, v3, v81
	v_mul_f32_e32 v1, v2, v81
	s_waitcnt vmcnt(14)
	v_mul_f32_e32 v4, v15, v69
	v_mul_f32_e32 v5, v14, v69
	v_fmac_f32_e32 v0, v2, v80
	v_fma_f32 v1, v3, v80, -v1
	v_fmac_f32_e32 v4, v14, v68
	v_fma_f32 v5, v15, v68, -v5
	v_mul_f32_e32 v2, v13, v75
	v_mul_f32_e32 v3, v12, v75
	ds_write2_b64 v107, v[0:1], v[4:5] offset0:192 offset1:248
	s_waitcnt vmcnt(13)
	v_mul_f32_e32 v0, v7, v59
	v_mul_f32_e32 v1, v6, v59
	v_fmac_f32_e32 v2, v12, v74
	v_fma_f32 v3, v13, v74, -v3
	v_fmac_f32_e32 v0, v6, v58
	v_fma_f32 v1, v7, v58, -v1
	ds_write2_b64 v52, v[2:3], v[0:1] offset0:112 offset1:168
	s_waitcnt vmcnt(11)
	v_mul_f32_e32 v0, v17, v83
	v_mul_f32_e32 v1, v16, v83
	v_fmac_f32_e32 v0, v16, v82
	s_waitcnt vmcnt(8)
	v_mul_f32_e32 v4, v21, v79
	v_mul_f32_e32 v5, v20, v79
	v_fma_f32 v1, v17, v82, -v1
	v_fmac_f32_e32 v4, v20, v78
	v_fma_f32 v5, v21, v78, -v5
	v_mul_f32_e32 v2, v19, v55
	v_mul_f32_e32 v3, v18, v55
	ds_write2_b64 v53, v[0:1], v[4:5] offset0:48 offset1:104
	s_waitcnt vmcnt(6)
	v_mul_f32_e32 v0, v23, v77
	v_mul_f32_e32 v1, v22, v77
	v_fmac_f32_e32 v2, v18, v54
	v_fma_f32 v3, v19, v54, -v3
	v_fmac_f32_e32 v0, v22, v76
	v_fma_f32 v1, v23, v76, -v1
	ds_write2_b64 v106, v[2:3], v[0:1] offset0:96 offset1:152
	s_waitcnt vmcnt(2)
	v_mul_f32_e32 v2, v27, v61
	v_mul_f32_e32 v3, v26, v61
	v_fmac_f32_e32 v2, v26, v60
	v_fma_f32 v3, v27, v60, -v3
	v_mul_f32_e32 v0, v25, v71
	v_mul_f32_e32 v1, v24, v71
	ds_write_b64 v52, v[2:3] offset:2688
	s_waitcnt vmcnt(0)
	v_mul_f32_e32 v2, v29, v65
	v_mul_f32_e32 v3, v28, v65
	v_fmac_f32_e32 v0, v24, v70
	v_fma_f32 v1, v25, v70, -v1
	v_fmac_f32_e32 v2, v28, v64
	v_fma_f32 v3, v29, v64, -v3
	ds_write2_b64 v53, v[0:1], v[2:3] offset0:160 offset1:216
	s_waitcnt lgkmcnt(0)
	; wave barrier
	s_waitcnt lgkmcnt(0)
	ds_read2_b64 v[0:3], v52 offset1:56
	ds_read2_b64 v[4:7], v107 offset0:80 offset1:136
	ds_read2_b64 v[8:11], v107 offset0:192 offset1:248
	;; [unrolled: 1-line block ×5, first 2 shown]
	s_waitcnt lgkmcnt(4)
	v_pk_add_f32 v[14:15], v[0:1], v[6:7] neg_lo:[0,1] neg_hi:[0,1]
	s_waitcnt lgkmcnt(3)
	v_pk_add_f32 v[8:9], v[2:3], v[8:9] neg_lo:[0,1] neg_hi:[0,1]
	v_pk_fma_f32 v[12:13], v[0:1], 2.0, v[14:15] op_sel_hi:[1,0,1] neg_lo:[0,0,1] neg_hi:[0,0,1]
	v_pk_fma_f32 v[6:7], v[2:3], 2.0, v[8:9] op_sel_hi:[1,0,1] neg_lo:[0,0,1] neg_hi:[0,0,1]
	ds_read2_b64 v[0:3], v53 offset0:48 offset1:104
	s_waitcnt lgkmcnt(3)
	v_pk_add_f32 v[22:23], v[16:17], v[10:11] neg_lo:[0,1] neg_hi:[0,1]
	s_waitcnt lgkmcnt(0)
	v_pk_fma_f32 v[20:21], v[16:17], 2.0, v[22:23] op_sel_hi:[1,0,1] neg_lo:[0,0,1] neg_hi:[0,0,1]
	; wave barrier
	v_pk_add_f32 v[34:35], v[18:19], v[0:1] neg_lo:[0,1] neg_hi:[0,1]
	v_pk_add_f32 v[2:3], v[24:25], v[2:3] neg_lo:[0,1] neg_hi:[0,1]
	v_pk_fma_f32 v[32:33], v[18:19], 2.0, v[34:35] op_sel_hi:[1,0,1] neg_lo:[0,0,1] neg_hi:[0,0,1]
	v_pk_add_f32 v[18:19], v[26:27], v[28:29] neg_lo:[0,1] neg_hi:[0,1]
	v_pk_fma_f32 v[0:1], v[24:25], 2.0, v[2:3] op_sel_hi:[1,0,1] neg_lo:[0,0,1] neg_hi:[0,0,1]
	v_pk_fma_f32 v[16:17], v[26:27], 2.0, v[18:19] op_sel_hi:[1,0,1] neg_lo:[0,0,1] neg_hi:[0,0,1]
	v_pk_add_f32 v[26:27], v[4:5], v[30:31] neg_lo:[0,1] neg_hi:[0,1]
	ds_write_b128 v108, v[12:15]
	ds_write_b128 v108, v[6:9] offset:896
	v_pk_fma_f32 v[24:25], v[4:5], 2.0, v[26:27] op_sel_hi:[1,0,1] neg_lo:[0,0,1] neg_hi:[0,0,1]
	ds_write_b128 v57, v[20:23] offset:1792
	ds_write_b128 v57, v[32:35] offset:2688
	;; [unrolled: 1-line block ×5, first 2 shown]
	v_lshlrev_b32_e32 v0, 3, v41
	s_waitcnt lgkmcnt(0)
	; wave barrier
	s_waitcnt lgkmcnt(0)
	global_load_dwordx2 v[86:87], v0, s[10:11]
	ds_read2_b64 v[0:3], v53 offset0:160 offset1:216
	ds_read2_b64 v[4:7], v53 offset0:48 offset1:104
	s_waitcnt vmcnt(0) lgkmcnt(1)
	v_pk_mul_f32 v[8:9], v[2:3], v[86:87] op_sel:[0,1]
	s_nop 0
	v_pk_fma_f32 v[14:15], v[2:3], v[86:87], v[8:9] op_sel:[0,0,1] op_sel_hi:[1,1,0] neg_lo:[0,0,1] neg_hi:[0,0,1]
	v_pk_fma_f32 v[16:17], v[2:3], v[86:87], v[8:9] op_sel:[0,0,1] op_sel_hi:[1,0,0]
	v_pk_mul_f32 v[2:3], v[0:1], v[86:87] op_sel:[0,1]
	s_waitcnt lgkmcnt(0)
	v_pk_mul_f32 v[8:9], v[6:7], v[86:87] op_sel:[0,1]
	v_pk_fma_f32 v[18:19], v[0:1], v[86:87], v[2:3] op_sel:[0,0,1] op_sel_hi:[1,1,0] neg_lo:[0,0,1] neg_hi:[0,0,1]
	v_pk_fma_f32 v[20:21], v[0:1], v[86:87], v[2:3] op_sel:[0,0,1] op_sel_hi:[1,0,0]
	ds_read2_b64 v[0:3], v107 offset0:192 offset1:248
	v_pk_fma_f32 v[22:23], v[6:7], v[86:87], v[8:9] op_sel:[0,0,1] op_sel_hi:[1,1,0] neg_lo:[0,0,1] neg_hi:[0,0,1]
	v_pk_fma_f32 v[24:25], v[6:7], v[86:87], v[8:9] op_sel:[0,0,1] op_sel_hi:[1,0,0]
	v_pk_mul_f32 v[6:7], v[4:5], v[86:87] op_sel:[0,1]
	v_mov_b32_e32 v23, v25
	v_pk_fma_f32 v[26:27], v[4:5], v[86:87], v[6:7] op_sel:[0,0,1] op_sel_hi:[1,1,0] neg_lo:[0,0,1] neg_hi:[0,0,1]
	v_pk_fma_f32 v[28:29], v[4:5], v[86:87], v[6:7] op_sel:[0,0,1] op_sel_hi:[1,0,0]
	ds_read2_b64 v[4:7], v107 offset0:80 offset1:136
	s_waitcnt lgkmcnt(1)
	v_pk_mul_f32 v[8:9], v[2:3], v[86:87] op_sel:[0,1]
	v_mov_b32_e32 v27, v29
	v_pk_fma_f32 v[30:31], v[2:3], v[86:87], v[8:9] op_sel:[0,0,1] op_sel_hi:[1,1,0] neg_lo:[0,0,1] neg_hi:[0,0,1]
	v_pk_fma_f32 v[32:33], v[2:3], v[86:87], v[8:9] op_sel:[0,0,1] op_sel_hi:[1,0,0]
	v_pk_mul_f32 v[2:3], v[0:1], v[86:87] op_sel:[0,1]
	v_mov_b32_e32 v31, v33
	v_pk_fma_f32 v[34:35], v[0:1], v[86:87], v[2:3] op_sel:[0,0,1] op_sel_hi:[1,1,0] neg_lo:[0,0,1] neg_hi:[0,0,1]
	v_pk_fma_f32 v[36:37], v[0:1], v[86:87], v[2:3] op_sel:[0,0,1] op_sel_hi:[1,0,0]
	s_waitcnt lgkmcnt(0)
	v_pk_mul_f32 v[0:1], v[6:7], v[86:87] op_sel:[0,1]
	v_mov_b32_e32 v35, v37
	v_pk_fma_f32 v[8:9], v[6:7], v[86:87], v[0:1] op_sel:[0,0,1] op_sel_hi:[1,1,0] neg_lo:[0,0,1] neg_hi:[0,0,1]
	v_pk_fma_f32 v[6:7], v[6:7], v[86:87], v[0:1] op_sel:[0,0,1] op_sel_hi:[1,0,0]
	ds_read2_b64 v[0:3], v52 offset1:56
	v_mov_b32_e32 v9, v7
	v_and_or_b32 v6, v40, s2, v41
	v_lshlrev_b32_e32 v109, 3, v6
	s_movk_i32 s2, 0xfc
	s_waitcnt lgkmcnt(0)
	v_pk_add_f32 v[38:39], v[0:1], v[8:9] neg_lo:[0,1] neg_hi:[0,1]
	ds_read2_b64 v[6:9], v106 offset0:96 offset1:152
	ds_read2_b64 v[10:13], v52 offset0:112 offset1:168
	v_pk_fma_f32 v[0:1], v[0:1], 2.0, v[38:39] op_sel_hi:[1,0,1] neg_lo:[0,0,1] neg_hi:[0,0,1]
	s_waitcnt lgkmcnt(0)
	; wave barrier
	s_waitcnt lgkmcnt(0)
	ds_write2_b64 v109, v[0:1], v[38:39] offset1:2
	v_pk_add_f32 v[0:1], v[2:3], v[34:35] neg_lo:[0,1] neg_hi:[0,1]
	v_and_or_b32 v15, v42, s2, v41
	v_pk_fma_f32 v[2:3], v[2:3], 2.0, v[0:1] op_sel_hi:[1,0,1] neg_lo:[0,0,1] neg_hi:[0,0,1]
	v_lshlrev_b32_e32 v110, 3, v15
	s_movk_i32 s2, 0x1fc
	ds_write2_b64 v110, v[2:3], v[0:1] offset1:2
	v_and_or_b32 v0, v43, s2, v41
	v_lshlrev_b32_e32 v111, 3, v0
	v_pk_add_f32 v[0:1], v[10:11], v[30:31] neg_lo:[0,1] neg_hi:[0,1]
	v_mov_b32_e32 v19, v21
	v_pk_fma_f32 v[2:3], v[10:11], 2.0, v[0:1] op_sel_hi:[1,0,1] neg_lo:[0,0,1] neg_hi:[0,0,1]
	ds_write2_b64 v111, v[2:3], v[0:1] offset1:2
	v_pk_add_f32 v[0:1], v[12:13], v[26:27] neg_lo:[0,1] neg_hi:[0,1]
	v_and_or_b32 v10, v44, s2, v41
	v_pk_fma_f32 v[2:3], v[12:13], 2.0, v[0:1] op_sel_hi:[1,0,1] neg_lo:[0,0,1] neg_hi:[0,0,1]
	v_lshlrev_b32_e32 v112, 3, v10
	s_movk_i32 s2, 0x3fc
	ds_write2_b64 v112, v[2:3], v[0:1] offset1:2
	v_and_or_b32 v0, v45, s2, v41
	v_lshlrev_b32_e32 v113, 3, v0
	v_pk_add_f32 v[0:1], v[6:7], v[22:23] neg_lo:[0,1] neg_hi:[0,1]
	v_mov_b32_e32 v15, v17
	v_pk_fma_f32 v[2:3], v[6:7], 2.0, v[0:1] op_sel_hi:[1,0,1] neg_lo:[0,0,1] neg_hi:[0,0,1]
	ds_write2_b64 v113, v[2:3], v[0:1] offset1:2
	v_pk_add_f32 v[0:1], v[8:9], v[18:19] neg_lo:[0,1] neg_hi:[0,1]
	v_and_or_b32 v6, v46, s3, v41
	v_pk_fma_f32 v[2:3], v[8:9], 2.0, v[0:1] op_sel_hi:[1,0,1] neg_lo:[0,0,1] neg_hi:[0,0,1]
	v_lshlrev_b32_e32 v114, 3, v6
	ds_write2_b64 v114, v[2:3], v[0:1] offset1:2
	v_pk_add_f32 v[0:1], v[4:5], v[14:15] neg_lo:[0,1] neg_hi:[0,1]
	s_movk_i32 s3, 0x2f8
	v_pk_fma_f32 v[2:3], v[4:5], 2.0, v[0:1] op_sel_hi:[1,0,1] neg_lo:[0,0,1] neg_hi:[0,0,1]
	v_and_or_b32 v4, v47, s2, v41
	v_lshlrev_b32_e32 v115, 3, v4
	v_and_b32_e32 v41, 3, v104
	ds_write2_b64 v115, v[2:3], v[0:1] offset1:2
	v_lshlrev_b32_e32 v0, 3, v41
	s_waitcnt lgkmcnt(0)
	; wave barrier
	s_waitcnt lgkmcnt(0)
	global_load_dwordx2 v[90:91], v0, s[10:11] offset:16
	ds_read2_b64 v[0:3], v53 offset0:160 offset1:216
	ds_read2_b64 v[4:7], v53 offset0:48 offset1:104
	s_movk_i32 s2, 0x78
	s_waitcnt vmcnt(0) lgkmcnt(1)
	v_pk_mul_f32 v[8:9], v[2:3], v[90:91] op_sel:[0,1]
	s_nop 0
	v_pk_fma_f32 v[14:15], v[2:3], v[90:91], v[8:9] op_sel:[0,0,1] op_sel_hi:[1,1,0] neg_lo:[0,0,1] neg_hi:[0,0,1]
	v_pk_fma_f32 v[16:17], v[2:3], v[90:91], v[8:9] op_sel:[0,0,1] op_sel_hi:[1,0,0]
	v_pk_mul_f32 v[2:3], v[0:1], v[90:91] op_sel:[0,1]
	s_waitcnt lgkmcnt(0)
	v_pk_mul_f32 v[8:9], v[6:7], v[90:91] op_sel:[0,1]
	v_pk_fma_f32 v[18:19], v[0:1], v[90:91], v[2:3] op_sel:[0,0,1] op_sel_hi:[1,1,0] neg_lo:[0,0,1] neg_hi:[0,0,1]
	v_pk_fma_f32 v[20:21], v[0:1], v[90:91], v[2:3] op_sel:[0,0,1] op_sel_hi:[1,0,0]
	ds_read2_b64 v[0:3], v107 offset0:192 offset1:248
	v_pk_fma_f32 v[22:23], v[6:7], v[90:91], v[8:9] op_sel:[0,0,1] op_sel_hi:[1,1,0] neg_lo:[0,0,1] neg_hi:[0,0,1]
	v_pk_fma_f32 v[24:25], v[6:7], v[90:91], v[8:9] op_sel:[0,0,1] op_sel_hi:[1,0,0]
	v_pk_mul_f32 v[6:7], v[4:5], v[90:91] op_sel:[0,1]
	v_mov_b32_e32 v23, v25
	v_pk_fma_f32 v[26:27], v[4:5], v[90:91], v[6:7] op_sel:[0,0,1] op_sel_hi:[1,1,0] neg_lo:[0,0,1] neg_hi:[0,0,1]
	v_pk_fma_f32 v[28:29], v[4:5], v[90:91], v[6:7] op_sel:[0,0,1] op_sel_hi:[1,0,0]
	ds_read2_b64 v[4:7], v107 offset0:80 offset1:136
	s_waitcnt lgkmcnt(1)
	v_pk_mul_f32 v[8:9], v[2:3], v[90:91] op_sel:[0,1]
	v_mov_b32_e32 v27, v29
	v_pk_fma_f32 v[30:31], v[2:3], v[90:91], v[8:9] op_sel:[0,0,1] op_sel_hi:[1,1,0] neg_lo:[0,0,1] neg_hi:[0,0,1]
	v_pk_fma_f32 v[32:33], v[2:3], v[90:91], v[8:9] op_sel:[0,0,1] op_sel_hi:[1,0,0]
	v_pk_mul_f32 v[2:3], v[0:1], v[90:91] op_sel:[0,1]
	v_mov_b32_e32 v31, v33
	v_pk_fma_f32 v[34:35], v[0:1], v[90:91], v[2:3] op_sel:[0,0,1] op_sel_hi:[1,1,0] neg_lo:[0,0,1] neg_hi:[0,0,1]
	v_pk_fma_f32 v[36:37], v[0:1], v[90:91], v[2:3] op_sel:[0,0,1] op_sel_hi:[1,0,0]
	s_waitcnt lgkmcnt(0)
	v_pk_mul_f32 v[0:1], v[6:7], v[90:91] op_sel:[0,1]
	v_mov_b32_e32 v35, v37
	v_pk_fma_f32 v[8:9], v[6:7], v[90:91], v[0:1] op_sel:[0,0,1] op_sel_hi:[1,1,0] neg_lo:[0,0,1] neg_hi:[0,0,1]
	v_pk_fma_f32 v[6:7], v[6:7], v[90:91], v[0:1] op_sel:[0,0,1] op_sel_hi:[1,0,0]
	ds_read2_b64 v[0:3], v52 offset1:56
	v_mov_b32_e32 v9, v7
	v_and_or_b32 v6, v40, s2, v41
	v_lshlrev_b32_e32 v116, 3, v6
	s_movk_i32 s2, 0xf8
	s_waitcnt lgkmcnt(0)
	v_pk_add_f32 v[38:39], v[0:1], v[8:9] neg_lo:[0,1] neg_hi:[0,1]
	ds_read2_b64 v[6:9], v106 offset0:96 offset1:152
	ds_read2_b64 v[10:13], v52 offset0:112 offset1:168
	v_pk_fma_f32 v[0:1], v[0:1], 2.0, v[38:39] op_sel_hi:[1,0,1] neg_lo:[0,0,1] neg_hi:[0,0,1]
	s_waitcnt lgkmcnt(0)
	; wave barrier
	s_waitcnt lgkmcnt(0)
	ds_write2_b64 v116, v[0:1], v[38:39] offset1:4
	v_pk_add_f32 v[0:1], v[2:3], v[34:35] neg_lo:[0,1] neg_hi:[0,1]
	v_and_or_b32 v15, v42, s2, v41
	v_pk_fma_f32 v[2:3], v[2:3], 2.0, v[0:1] op_sel_hi:[1,0,1] neg_lo:[0,0,1] neg_hi:[0,0,1]
	v_lshlrev_b32_e32 v117, 3, v15
	s_movk_i32 s2, 0x1f8
	ds_write2_b64 v117, v[2:3], v[0:1] offset1:4
	v_and_or_b32 v0, v43, s2, v41
	v_lshlrev_b32_e32 v118, 3, v0
	v_pk_add_f32 v[0:1], v[10:11], v[30:31] neg_lo:[0,1] neg_hi:[0,1]
	v_mov_b32_e32 v19, v21
	v_pk_fma_f32 v[2:3], v[10:11], 2.0, v[0:1] op_sel_hi:[1,0,1] neg_lo:[0,0,1] neg_hi:[0,0,1]
	ds_write2_b64 v118, v[2:3], v[0:1] offset1:4
	v_pk_add_f32 v[0:1], v[12:13], v[26:27] neg_lo:[0,1] neg_hi:[0,1]
	v_and_or_b32 v10, v44, s2, v41
	v_pk_fma_f32 v[2:3], v[12:13], 2.0, v[0:1] op_sel_hi:[1,0,1] neg_lo:[0,0,1] neg_hi:[0,0,1]
	v_lshlrev_b32_e32 v119, 3, v10
	s_movk_i32 s2, 0x3f8
	ds_write2_b64 v119, v[2:3], v[0:1] offset1:4
	v_and_or_b32 v0, v45, s2, v41
	v_lshlrev_b32_e32 v120, 3, v0
	v_pk_add_f32 v[0:1], v[6:7], v[22:23] neg_lo:[0,1] neg_hi:[0,1]
	v_mov_b32_e32 v15, v17
	v_pk_fma_f32 v[2:3], v[6:7], 2.0, v[0:1] op_sel_hi:[1,0,1] neg_lo:[0,0,1] neg_hi:[0,0,1]
	ds_write2_b64 v120, v[2:3], v[0:1] offset1:4
	v_pk_add_f32 v[0:1], v[8:9], v[18:19] neg_lo:[0,1] neg_hi:[0,1]
	v_and_or_b32 v6, v46, s3, v41
	v_pk_fma_f32 v[2:3], v[8:9], 2.0, v[0:1] op_sel_hi:[1,0,1] neg_lo:[0,0,1] neg_hi:[0,0,1]
	v_lshlrev_b32_e32 v121, 3, v6
	ds_write2_b64 v121, v[2:3], v[0:1] offset1:4
	v_pk_add_f32 v[0:1], v[4:5], v[14:15] neg_lo:[0,1] neg_hi:[0,1]
	s_movk_i32 s3, 0x2f0
	v_pk_fma_f32 v[2:3], v[4:5], 2.0, v[0:1] op_sel_hi:[1,0,1] neg_lo:[0,0,1] neg_hi:[0,0,1]
	v_and_or_b32 v4, v47, s2, v41
	v_lshlrev_b32_e32 v122, 3, v4
	v_and_b32_e32 v41, 7, v104
	ds_write2_b64 v122, v[2:3], v[0:1] offset1:4
	v_lshlrev_b32_e32 v0, 3, v41
	s_waitcnt lgkmcnt(0)
	; wave barrier
	s_waitcnt lgkmcnt(0)
	global_load_dwordx2 v[92:93], v0, s[10:11] offset:48
	ds_read2_b64 v[0:3], v53 offset0:160 offset1:216
	ds_read2_b64 v[4:7], v53 offset0:48 offset1:104
	s_movk_i32 s2, 0x70
	s_waitcnt vmcnt(0) lgkmcnt(1)
	v_pk_mul_f32 v[8:9], v[2:3], v[92:93] op_sel:[0,1]
	s_nop 0
	v_pk_fma_f32 v[14:15], v[2:3], v[92:93], v[8:9] op_sel:[0,0,1] op_sel_hi:[1,1,0] neg_lo:[0,0,1] neg_hi:[0,0,1]
	v_pk_fma_f32 v[16:17], v[2:3], v[92:93], v[8:9] op_sel:[0,0,1] op_sel_hi:[1,0,0]
	v_pk_mul_f32 v[2:3], v[0:1], v[92:93] op_sel:[0,1]
	s_waitcnt lgkmcnt(0)
	v_pk_mul_f32 v[8:9], v[6:7], v[92:93] op_sel:[0,1]
	v_pk_fma_f32 v[18:19], v[0:1], v[92:93], v[2:3] op_sel:[0,0,1] op_sel_hi:[1,1,0] neg_lo:[0,0,1] neg_hi:[0,0,1]
	v_pk_fma_f32 v[20:21], v[0:1], v[92:93], v[2:3] op_sel:[0,0,1] op_sel_hi:[1,0,0]
	ds_read2_b64 v[0:3], v107 offset0:192 offset1:248
	v_pk_fma_f32 v[22:23], v[6:7], v[92:93], v[8:9] op_sel:[0,0,1] op_sel_hi:[1,1,0] neg_lo:[0,0,1] neg_hi:[0,0,1]
	v_pk_fma_f32 v[24:25], v[6:7], v[92:93], v[8:9] op_sel:[0,0,1] op_sel_hi:[1,0,0]
	v_pk_mul_f32 v[6:7], v[4:5], v[92:93] op_sel:[0,1]
	v_mov_b32_e32 v23, v25
	v_pk_fma_f32 v[26:27], v[4:5], v[92:93], v[6:7] op_sel:[0,0,1] op_sel_hi:[1,1,0] neg_lo:[0,0,1] neg_hi:[0,0,1]
	v_pk_fma_f32 v[28:29], v[4:5], v[92:93], v[6:7] op_sel:[0,0,1] op_sel_hi:[1,0,0]
	ds_read2_b64 v[4:7], v107 offset0:80 offset1:136
	s_waitcnt lgkmcnt(1)
	v_pk_mul_f32 v[8:9], v[2:3], v[92:93] op_sel:[0,1]
	v_mov_b32_e32 v27, v29
	v_pk_fma_f32 v[30:31], v[2:3], v[92:93], v[8:9] op_sel:[0,0,1] op_sel_hi:[1,1,0] neg_lo:[0,0,1] neg_hi:[0,0,1]
	v_pk_fma_f32 v[32:33], v[2:3], v[92:93], v[8:9] op_sel:[0,0,1] op_sel_hi:[1,0,0]
	v_pk_mul_f32 v[2:3], v[0:1], v[92:93] op_sel:[0,1]
	v_mov_b32_e32 v31, v33
	v_pk_fma_f32 v[34:35], v[0:1], v[92:93], v[2:3] op_sel:[0,0,1] op_sel_hi:[1,1,0] neg_lo:[0,0,1] neg_hi:[0,0,1]
	v_pk_fma_f32 v[36:37], v[0:1], v[92:93], v[2:3] op_sel:[0,0,1] op_sel_hi:[1,0,0]
	s_waitcnt lgkmcnt(0)
	v_pk_mul_f32 v[0:1], v[6:7], v[92:93] op_sel:[0,1]
	v_mov_b32_e32 v35, v37
	v_pk_fma_f32 v[8:9], v[6:7], v[92:93], v[0:1] op_sel:[0,0,1] op_sel_hi:[1,1,0] neg_lo:[0,0,1] neg_hi:[0,0,1]
	v_pk_fma_f32 v[6:7], v[6:7], v[92:93], v[0:1] op_sel:[0,0,1] op_sel_hi:[1,0,0]
	ds_read2_b64 v[0:3], v52 offset1:56
	v_mov_b32_e32 v9, v7
	v_and_or_b32 v6, v40, s2, v41
	v_lshlrev_b32_e32 v123, 3, v6
	s_movk_i32 s2, 0xf0
	s_waitcnt lgkmcnt(0)
	v_pk_add_f32 v[38:39], v[0:1], v[8:9] neg_lo:[0,1] neg_hi:[0,1]
	ds_read2_b64 v[6:9], v106 offset0:96 offset1:152
	ds_read2_b64 v[10:13], v52 offset0:112 offset1:168
	v_pk_fma_f32 v[0:1], v[0:1], 2.0, v[38:39] op_sel_hi:[1,0,1] neg_lo:[0,0,1] neg_hi:[0,0,1]
	s_waitcnt lgkmcnt(0)
	; wave barrier
	s_waitcnt lgkmcnt(0)
	ds_write2_b64 v123, v[0:1], v[38:39] offset1:8
	v_pk_add_f32 v[0:1], v[2:3], v[34:35] neg_lo:[0,1] neg_hi:[0,1]
	v_and_or_b32 v15, v42, s2, v41
	v_pk_fma_f32 v[2:3], v[2:3], 2.0, v[0:1] op_sel_hi:[1,0,1] neg_lo:[0,0,1] neg_hi:[0,0,1]
	v_lshlrev_b32_e32 v124, 3, v15
	s_movk_i32 s2, 0x1f0
	ds_write2_b64 v124, v[2:3], v[0:1] offset1:8
	v_and_or_b32 v0, v43, s2, v41
	v_lshlrev_b32_e32 v125, 3, v0
	v_pk_add_f32 v[0:1], v[10:11], v[30:31] neg_lo:[0,1] neg_hi:[0,1]
	v_mov_b32_e32 v19, v21
	v_pk_fma_f32 v[2:3], v[10:11], 2.0, v[0:1] op_sel_hi:[1,0,1] neg_lo:[0,0,1] neg_hi:[0,0,1]
	ds_write2_b64 v125, v[2:3], v[0:1] offset1:8
	v_pk_add_f32 v[0:1], v[12:13], v[26:27] neg_lo:[0,1] neg_hi:[0,1]
	v_and_or_b32 v10, v44, s2, v41
	v_pk_fma_f32 v[2:3], v[12:13], 2.0, v[0:1] op_sel_hi:[1,0,1] neg_lo:[0,0,1] neg_hi:[0,0,1]
	v_lshlrev_b32_e32 v126, 3, v10
	s_movk_i32 s2, 0x3f0
	ds_write2_b64 v126, v[2:3], v[0:1] offset1:8
	v_and_or_b32 v0, v45, s2, v41
	v_lshlrev_b32_e32 v127, 3, v0
	v_pk_add_f32 v[0:1], v[6:7], v[22:23] neg_lo:[0,1] neg_hi:[0,1]
	v_mov_b32_e32 v15, v17
	v_pk_fma_f32 v[2:3], v[6:7], 2.0, v[0:1] op_sel_hi:[1,0,1] neg_lo:[0,0,1] neg_hi:[0,0,1]
	ds_write2_b64 v127, v[2:3], v[0:1] offset1:8
	v_pk_add_f32 v[0:1], v[8:9], v[18:19] neg_lo:[0,1] neg_hi:[0,1]
	v_and_or_b32 v6, v46, s3, v41
	v_pk_fma_f32 v[2:3], v[8:9], 2.0, v[0:1] op_sel_hi:[1,0,1] neg_lo:[0,0,1] neg_hi:[0,0,1]
	v_lshlrev_b32_e32 v128, 3, v6
	ds_write2_b64 v128, v[2:3], v[0:1] offset1:8
	v_pk_add_f32 v[0:1], v[4:5], v[14:15] neg_lo:[0,1] neg_hi:[0,1]
	s_nop 0
	v_pk_fma_f32 v[2:3], v[4:5], 2.0, v[0:1] op_sel_hi:[1,0,1] neg_lo:[0,0,1] neg_hi:[0,0,1]
	v_and_or_b32 v4, v47, s2, v41
	v_lshlrev_b32_e32 v129, 3, v4
	v_mad_u64_u32 v[20:21], s[2:3], v49, 48, s[10:11]
	ds_write2_b64 v129, v[2:3], v[0:1] offset1:8
	s_waitcnt lgkmcnt(0)
	; wave barrier
	s_waitcnt lgkmcnt(0)
	global_load_dwordx4 v[0:3], v[20:21], off offset:144
	v_mad_u64_u32 v[22:23], s[2:3], v150, 48, s[10:11]
	global_load_dwordx4 v[4:7], v[22:23], off offset:144
	global_load_dwordx4 v[12:15], v[20:21], off offset:112
	;; [unrolled: 1-line block ×4, first 2 shown]
	ds_read2_b64 v[24:27], v53 offset0:160 offset1:216
	global_load_dwordx4 v[20:23], v[20:21], off offset:128
	s_mov_b32 s2, s9
	s_mov_b32 s3, s8
	s_waitcnt vmcnt(5) lgkmcnt(0)
	v_pk_mul_f32 v[28:29], v[26:27], v[2:3] op_sel_hi:[1,0]
	v_mov_b32_e32 v30, v3
	v_pk_fma_f32 v[42:43], v[26:27], v[30:31], v[28:29] op_sel:[0,0,1] op_sel_hi:[1,0,0]
	v_pk_fma_f32 v[40:41], v[26:27], v[30:31], v[28:29] op_sel:[0,0,1] op_sel_hi:[1,0,0] neg_lo:[1,0,0] neg_hi:[1,0,0]
	ds_read2_b64 v[26:29], v52 offset0:112 offset1:168
	s_waitcnt vmcnt(4)
	v_pk_mul_f32 v[30:31], v[24:25], v[6:7] op_sel_hi:[1,0]
	v_mov_b32_e32 v32, v7
	v_pk_fma_f32 v[36:37], v[24:25], v[32:33], v[30:31] op_sel:[0,0,1] op_sel_hi:[1,0,0]
	v_pk_fma_f32 v[50:51], v[24:25], v[32:33], v[30:31] op_sel:[0,0,1] op_sel_hi:[1,0,0] neg_lo:[1,0,0] neg_hi:[1,0,0]
	s_waitcnt vmcnt(3) lgkmcnt(0)
	v_pk_mul_f32 v[24:25], v[28:29], v[12:13] op_sel_hi:[1,0]
	v_mov_b32_e32 v37, v51
	v_pk_fma_f32 v[46:47], v[28:29], v[12:13], v[24:25] op_sel:[0,1,1] op_sel_hi:[1,1,0]
	v_pk_fma_f32 v[44:45], v[28:29], v[12:13], v[24:25] op_sel:[0,1,1] op_sel_hi:[1,1,0] neg_lo:[1,0,0] neg_hi:[1,0,0]
	s_waitcnt vmcnt(2)
	v_pk_mul_f32 v[24:25], v[26:27], v[16:17] op_sel_hi:[1,0]
	v_mov_b32_e32 v38, v19
	v_pk_fma_f32 v[28:29], v[26:27], v[16:17], v[24:25] op_sel:[0,1,1] op_sel_hi:[1,1,0]
	v_pk_fma_f32 v[30:31], v[26:27], v[16:17], v[24:25] op_sel:[0,1,1] op_sel_hi:[1,1,0] neg_lo:[1,0,0] neg_hi:[1,0,0]
	ds_read2_b64 v[32:35], v106 offset0:96 offset1:152
	ds_read2_b64 v[24:27], v107 offset0:192 offset1:248
	v_mov_b32_e32 v29, v31
	v_pk_add_f32 v[100:101], v[28:29], v[36:37]
	v_pk_add_f32 v[132:133], v[28:29], v[36:37] neg_lo:[0,1] neg_hi:[0,1]
	s_waitcnt lgkmcnt(1)
	v_mov_b32_e32 v28, v33
	v_mul_f32_e32 v40, v33, v19
	s_waitcnt lgkmcnt(0)
	v_mov_b32_e32 v33, v25
	s_waitcnt vmcnt(1)
	v_mov_b32_e32 v39, v11
	v_mov_b32_e32 v29, v24
	;; [unrolled: 1-line block ×4, first 2 shown]
	v_pk_mul_f32 v[38:39], v[32:33], v[38:39]
	v_mov_b32_e32 v130, v31
	v_pk_fma_f32 v[96:97], v[28:29], v[36:37], v[38:39] neg_lo:[0,0,1] neg_hi:[0,0,1]
	v_pk_fma_f32 v[98:99], v[28:29], v[18:19], v[38:39]
	ds_read2_b64 v[36:39], v53 offset0:48 offset1:104
	ds_read2_b64 v[28:31], v107 offset0:80 offset1:136
	v_mul_f32_e32 v131, v25, v10
	v_mov_b32_e32 v50, v51
	v_mul_f32_e32 v51, v24, v11
	s_waitcnt lgkmcnt(1)
	v_mov_b32_e32 v24, v37
	v_mul_f32_e32 v33, v37, v5
	s_waitcnt lgkmcnt(0)
	v_mov_b32_e32 v37, v29
	v_mov_b32_e32 v134, v5
	;; [unrolled: 1-line block ×3, first 2 shown]
	v_pk_add_f32 v[50:51], v[130:131], v[50:51]
	v_mov_b32_e32 v25, v28
	v_mov_b32_e32 v130, v4
	;; [unrolled: 1-line block ×3, first 2 shown]
	v_pk_mul_f32 v[134:135], v[36:37], v[134:135]
	v_mov_b32_e32 v99, v97
	v_pk_fma_f32 v[130:131], v[24:25], v[130:131], v[134:135] neg_lo:[0,0,1] neg_hi:[0,0,1]
	v_pk_fma_f32 v[24:25], v[24:25], v[4:5], v[134:135]
	v_mul_f32_e32 v29, v29, v8
	v_mov_b32_e32 v25, v131
	v_pk_add_f32 v[134:135], v[98:99], v[24:25]
	v_pk_add_f32 v[136:137], v[98:99], v[24:25] neg_lo:[0,1] neg_hi:[0,1]
	v_fma_f32 v25, v32, v18, -v40
	v_fma_f32 v32, v36, v4, -v33
	v_mul_f32_e32 v33, v28, v9
	v_mov_b32_e32 v28, v25
	v_pk_add_f32 v[36:37], v[28:29], v[32:33]
	v_mov_b32_e32 v24, v51
	v_mov_b32_e32 v29, v32
	;; [unrolled: 1-line block ×3, first 2 shown]
	v_pk_add_f32 v[32:33], v[24:25], v[28:29] neg_lo:[0,1] neg_hi:[0,1]
	v_mov_b32_e32 v24, v97
	v_mov_b32_e32 v25, v100
	;; [unrolled: 1-line block ×4, first 2 shown]
	v_pk_add_f32 v[24:25], v[28:29], v[24:25]
	v_mov_b32_e32 v28, v132
	v_mov_b32_e32 v29, v137
	v_pk_add_f32 v[96:97], v[36:37], v[50:51]
	v_pk_add_f32 v[138:139], v[28:29], v[32:33] neg_lo:[0,1] neg_hi:[0,1]
	v_mov_b32_e32 v28, v32
	v_mov_b32_e32 v29, v133
	;; [unrolled: 1-line block ×4, first 2 shown]
	v_pk_add_f32 v[130:131], v[96:97], v[24:25]
	ds_read2_b64 v[96:99], v52 offset1:56
	v_pk_add_f32 v[28:29], v[28:29], v[136:137] neg_lo:[0,1] neg_hi:[0,1]
	v_mov_b32_e32 v25, v134
	v_pk_mul_f32 v[140:141], v[28:29], s[18:19]
	v_pk_add_f32 v[28:29], v[136:137], v[32:33]
	v_pk_add_f32 v[144:145], v[50:51], v[24:25] neg_lo:[0,1] neg_hi:[0,1]
	v_pk_add_f32 v[142:143], v[28:29], v[132:133]
	v_mov_b32_e32 v28, v24
	v_mov_b32_e32 v29, v100
	v_pk_add_f32 v[28:29], v[28:29], v[36:37] neg_lo:[0,1] neg_hi:[0,1]
	s_waitcnt lgkmcnt(0)
	v_pk_add_f32 v[96:97], v[96:97], v[130:131]
	v_pk_mul_f32 v[146:147], v[28:29], s[8:9]
	v_pk_fma_f32 v[148:149], v[130:131], s[6:7], v[96:97] op_sel_hi:[1,0,1] neg_lo:[1,0,0] neg_hi:[1,0,0]
	v_pk_fma_f32 v[24:25], v[144:145], s[2:3], v[146:147]
	v_lshrrev_b32_e32 v32, 4, v104
	v_pk_add_f32 v[28:29], v[24:25], v[148:149]
	v_pk_fma_f32 v[24:25], v[138:139], s[16:17], v[140:141]
	v_mul_u32_u24_e32 v32, 0x70, v32
	v_pk_fma_f32 v[130:131], v[142:143], s[14:15], v[24:25] op_sel_hi:[1,0,1]
	v_or_b32_e32 v32, v32, v150
	v_pk_add_f32 v[24:25], v[28:29], v[130:131]
	v_pk_add_f32 v[28:29], v[28:29], v[130:131] neg_lo:[0,1] neg_hi:[0,1]
	v_lshlrev_b32_e32 v130, 3, v32
	v_mov_b32_e32 v150, v24
	v_mov_b32_e32 v151, v29
	;; [unrolled: 1-line block ×4, first 2 shown]
	s_waitcnt lgkmcnt(0)
	; wave barrier
	ds_write2_b64 v130, v[96:97], v[150:151] offset1:16
	v_mov_b32_e32 v137, v33
	v_pk_add_f32 v[36:37], v[36:37], v[50:51] neg_lo:[0,1] neg_hi:[0,1]
	v_pk_mul_f32 v[50:51], v[138:139], s[16:17]
	v_pk_mul_f32 v[96:97], v[144:145], s[2:3]
	v_pk_add_f32 v[32:33], v[136:137], v[132:133] neg_lo:[0,1] neg_hi:[0,1]
	v_mov_b32_e32 v100, v96
	v_mov_b32_e32 v101, v147
	;; [unrolled: 1-line block ×6, first 2 shown]
	v_pk_fma_f32 v[100:101], v[36:37], s[12:13], v[100:101] op_sel_hi:[1,0,1] neg_lo:[1,0,1] neg_hi:[1,0,1]
	v_pk_fma_f32 v[132:133], v[32:33], s[20:21], v[132:133] op_sel_hi:[1,0,1] neg_lo:[1,0,1] neg_hi:[1,0,1]
	;; [unrolled: 1-line block ×4, first 2 shown]
	v_pk_add_f32 v[100:101], v[100:101], v[148:149]
	v_pk_fma_f32 v[132:133], v[142:143], s[14:15], v[132:133] op_sel_hi:[1,0,1]
	v_pk_add_f32 v[36:37], v[36:37], v[148:149]
	v_pk_fma_f32 v[32:33], v[142:143], s[14:15], v[32:33] op_sel_hi:[1,0,1]
	v_pk_add_f32 v[134:135], v[100:101], v[132:133]
	v_pk_add_f32 v[100:101], v[100:101], v[132:133] neg_lo:[0,1] neg_hi:[0,1]
	v_pk_add_f32 v[50:51], v[36:37], v[32:33] neg_lo:[0,1] neg_hi:[0,1]
	v_pk_add_f32 v[32:33], v[36:37], v[32:33]
	v_mov_b32_e32 v36, v134
	v_mov_b32_e32 v37, v101
	;; [unrolled: 1-line block ×6, first 2 shown]
	ds_write2_b64 v130, v[36:37], v[96:97] offset0:32 offset1:48
	ds_write2_b64 v130, v[32:33], v[100:101] offset0:64 offset1:80
	v_mul_f32_e32 v24, v35, v15
	v_mov_b32_e32 v32, v35
	v_mov_b32_e32 v35, v27
	;; [unrolled: 1-line block ×3, first 2 shown]
	s_waitcnt vmcnt(0)
	v_mov_b32_e32 v37, v23
	v_pk_mul_f32 v[36:37], v[34:35], v[36:37]
	v_fma_f32 v35, v34, v14, -v24
	v_mul_f32_e32 v24, v39, v1
	v_mov_b32_e32 v40, v39
	v_mov_b32_e32 v39, v31
	;; [unrolled: 1-line block ×9, first 2 shown]
	v_pk_mul_f32 v[50:51], v[38:39], v[50:51]
	v_pk_add_f32 v[96:97], v[46:47], v[42:43]
	v_pk_add_f32 v[42:43], v[46:47], v[42:43] neg_lo:[0,1] neg_hi:[0,1]
	v_pk_fma_f32 v[100:101], v[32:33], v[100:101], v[36:37] neg_lo:[0,0,1] neg_hi:[0,0,1]
	v_pk_fma_f32 v[32:33], v[32:33], v[14:15], v[36:37]
	v_mov_b32_e32 v46, v41
	v_mov_b32_e32 v41, v30
	;; [unrolled: 1-line block ×4, first 2 shown]
	v_fma_f32 v38, v38, v0, -v24
	v_mul_f32_e32 v27, v27, v22
	v_mul_f32_e32 v47, v26, v23
	v_mov_b32_e32 v26, v45
	v_mul_f32_e32 v39, v30, v21
	v_mul_f32_e32 v31, v31, v20
	v_pk_fma_f32 v[36:37], v[40:41], v[36:37], v[50:51] neg_lo:[0,0,1] neg_hi:[0,0,1]
	v_pk_fma_f32 v[40:41], v[40:41], v[0:1], v[50:51]
	v_mov_b32_e32 v30, v35
	v_pk_add_f32 v[26:27], v[26:27], v[46:47]
	v_mov_b32_e32 v33, v101
	v_mov_b32_e32 v41, v37
	v_pk_add_f32 v[30:31], v[30:31], v[38:39]
	v_pk_add_f32 v[44:45], v[32:33], v[40:41]
	v_mov_b32_e32 v34, v27
	v_mov_b32_e32 v39, v38
	;; [unrolled: 1-line block ×3, first 2 shown]
	v_pk_add_f32 v[34:35], v[34:35], v[38:39] neg_lo:[0,1] neg_hi:[0,1]
	v_mov_b32_e32 v38, v101
	v_mov_b32_e32 v39, v96
	;; [unrolled: 1-line block ×4, first 2 shown]
	v_pk_add_f32 v[36:37], v[36:37], v[38:39]
	v_pk_add_f32 v[38:39], v[30:31], v[26:27]
	v_pk_add_f32 v[32:33], v[32:33], v[40:41] neg_lo:[0,1] neg_hi:[0,1]
	v_mov_b32_e32 v31, v39
	v_mov_b32_e32 v50, v34
	;; [unrolled: 1-line block ×6, first 2 shown]
	v_pk_add_f32 v[38:39], v[38:39], v[36:37]
	v_mov_b32_e32 v46, v42
	v_mov_b32_e32 v47, v33
	v_pk_add_f32 v[50:51], v[50:51], v[32:33] neg_lo:[0,1] neg_hi:[0,1]
	v_pk_add_f32 v[100:101], v[100:101], v[30:31] neg_lo:[0,1] neg_hi:[0,1]
	v_mov_b32_e32 v37, v44
	v_pk_add_f32 v[40:41], v[98:99], v[38:39]
	v_pk_add_f32 v[46:47], v[46:47], v[34:35] neg_lo:[0,1] neg_hi:[0,1]
	v_pk_mul_f32 v[50:51], v[50:51], s[18:19]
	v_pk_add_f32 v[98:99], v[32:33], v[34:35]
	v_pk_add_f32 v[36:37], v[26:27], v[36:37] neg_lo:[0,1] neg_hi:[0,1]
	v_pk_mul_f32 v[100:101], v[100:101], s[8:9]
	v_pk_add_f32 v[98:99], v[98:99], v[42:43]
	v_pk_fma_f32 v[38:39], v[38:39], s[6:7], v[40:41] op_sel_hi:[1,0,1] neg_lo:[1,0,0] neg_hi:[1,0,0]
	v_pk_fma_f32 v[132:133], v[36:37], s[2:3], v[100:101]
	v_pk_fma_f32 v[134:135], v[46:47], s[16:17], v[50:51]
	v_lshrrev_b32_e32 v24, 4, v48
	v_pk_add_f32 v[132:133], v[132:133], v[38:39]
	v_pk_fma_f32 v[134:135], v[98:99], s[14:15], v[134:135] op_sel_hi:[1,0,1]
	v_mul_u32_u24_e32 v24, 0x70, v24
	v_pk_add_f32 v[136:137], v[132:133], v[134:135]
	v_pk_add_f32 v[132:133], v[132:133], v[134:135] neg_lo:[0,1] neg_hi:[0,1]
	v_mov_b32_e32 v29, v25
	v_or_b32_e32 v24, v24, v49
	v_mov_b32_e32 v27, v96
	v_mov_b32_e32 v31, v44
	ds_write_b64 v130, v[28:29] offset:768
	v_lshlrev_b32_e32 v131, 3, v24
	v_mov_b32_e32 v24, v136
	v_mov_b32_e32 v25, v133
	;; [unrolled: 1-line block ×3, first 2 shown]
	v_pk_add_f32 v[26:27], v[30:31], v[26:27] neg_lo:[0,1] neg_hi:[0,1]
	v_pk_mul_f32 v[28:29], v[46:47], s[16:17]
	v_pk_mul_f32 v[30:31], v[36:37], s[2:3]
	ds_write2_b64 v131, v[40:41], v[24:25] offset1:16
	v_pk_add_f32 v[24:25], v[32:33], v[42:43] neg_lo:[0,1] neg_hi:[0,1]
	v_mov_b32_e32 v32, v30
	v_mov_b32_e32 v33, v101
	;; [unrolled: 1-line block ×6, first 2 shown]
	v_pk_fma_f32 v[32:33], v[26:27], s[12:13], v[32:33] op_sel_hi:[1,0,1] neg_lo:[1,0,1] neg_hi:[1,0,1]
	v_pk_fma_f32 v[34:35], v[24:25], s[20:21], v[34:35] op_sel_hi:[1,0,1] neg_lo:[1,0,1] neg_hi:[1,0,1]
	;; [unrolled: 1-line block ×4, first 2 shown]
	v_pk_add_f32 v[32:33], v[32:33], v[38:39]
	v_pk_fma_f32 v[34:35], v[98:99], s[14:15], v[34:35] op_sel_hi:[1,0,1]
	v_pk_add_f32 v[26:27], v[26:27], v[38:39]
	v_pk_fma_f32 v[24:25], v[98:99], s[14:15], v[24:25] op_sel_hi:[1,0,1]
	v_pk_add_f32 v[36:37], v[32:33], v[34:35]
	v_pk_add_f32 v[32:33], v[32:33], v[34:35] neg_lo:[0,1] neg_hi:[0,1]
	v_pk_add_f32 v[28:29], v[26:27], v[24:25] neg_lo:[0,1] neg_hi:[0,1]
	v_pk_add_f32 v[24:25], v[26:27], v[24:25]
	v_mov_b32_e32 v26, v36
	v_mov_b32_e32 v27, v33
	v_mov_b32_e32 v30, v28
	v_mov_b32_e32 v31, v25
	v_mov_b32_e32 v25, v29
	v_mov_b32_e32 v33, v37
	v_mov_b32_e32 v133, v137
	v_mad_u64_u32 v[48:49], s[10:11], v104, 48, s[10:11]
	ds_write2_b64 v131, v[26:27], v[30:31] offset0:32 offset1:48
	ds_write2_b64 v131, v[24:25], v[32:33] offset0:64 offset1:80
	ds_write_b64 v131, v[132:133] offset:768
	s_waitcnt lgkmcnt(0)
	; wave barrier
	s_waitcnt lgkmcnt(0)
	global_load_dwordx4 v[24:27], v[48:49], off offset:912
	global_load_dwordx4 v[28:31], v[48:49], off offset:3600
	;; [unrolled: 1-line block ×6, first 2 shown]
	ds_read2_b64 v[48:51], v53 offset0:160 offset1:216
	ds_read2_b64 v[132:135], v106 offset0:96 offset1:152
	s_mov_b64 s[10:11], 0x1880
	s_waitcnt lgkmcnt(0)
	v_mov_b32_e32 v156, v133
	s_waitcnt vmcnt(5)
	v_pk_mul_f32 v[96:97], v[48:49], v[26:27] op_sel_hi:[1,0]
	v_mov_b32_e32 v98, v27
	v_pk_fma_f32 v[144:145], v[48:49], v[98:99], v[96:97] op_sel:[0,0,1] op_sel_hi:[1,0,0]
	v_pk_fma_f32 v[146:147], v[48:49], v[98:99], v[96:97] op_sel:[0,0,1] op_sel_hi:[1,0,0] neg_lo:[1,0,0] neg_hi:[1,0,0]
	ds_read2_b64 v[98:101], v52 offset0:112 offset1:168
	s_waitcnt vmcnt(4)
	v_pk_mul_f32 v[48:49], v[50:51], v[30:31] op_sel_hi:[1,0]
	v_mov_b32_e32 v96, v31
	v_pk_fma_f32 v[148:149], v[50:51], v[96:97], v[48:49] op_sel:[0,0,1] op_sel_hi:[1,0,0]
	v_pk_fma_f32 v[96:97], v[50:51], v[96:97], v[48:49] op_sel:[0,0,1] op_sel_hi:[1,0,0] neg_lo:[1,0,0] neg_hi:[1,0,0]
	s_waitcnt vmcnt(3) lgkmcnt(0)
	v_pk_mul_f32 v[48:49], v[98:99], v[44:45] op_sel_hi:[1,0]
	v_mul_f32_e32 v96, v133, v47
	v_pk_fma_f32 v[150:151], v[98:99], v[44:45], v[48:49] op_sel:[0,1,1] op_sel_hi:[1,1,0]
	v_pk_fma_f32 v[152:153], v[98:99], v[44:45], v[48:49] op_sel:[0,1,1] op_sel_hi:[1,1,0] neg_lo:[1,0,0] neg_hi:[1,0,0]
	ds_read2_b64 v[48:51], v107 offset0:192 offset1:248
	s_waitcnt vmcnt(2)
	v_pk_mul_f32 v[98:99], v[100:101], v[40:41] op_sel_hi:[1,0]
	v_mov_b32_e32 v136, v47
	v_pk_fma_f32 v[154:155], v[100:101], v[40:41], v[98:99] op_sel:[0,1,1] op_sel_hi:[1,1,0]
	v_pk_fma_f32 v[98:99], v[100:101], v[40:41], v[98:99] op_sel:[0,1,1] op_sel_hi:[1,1,0] neg_lo:[1,0,0] neg_hi:[1,0,0]
	s_waitcnt lgkmcnt(0)
	v_mov_b32_e32 v133, v49
	v_mul_f32_e32 v98, v135, v43
	v_mov_b32_e32 v100, v135
	v_mov_b32_e32 v135, v51
	s_waitcnt vmcnt(1)
	v_mov_b32_e32 v137, v39
	v_mov_b32_e32 v140, v43
	s_waitcnt vmcnt(0)
	v_mov_b32_e32 v141, v35
	v_pk_mul_f32 v[158:159], v[132:133], v[136:137]
	ds_read2_b64 v[136:139], v53 offset0:48 offset1:104
	v_pk_mul_f32 v[160:161], v[134:135], v[140:141]
	ds_read2_b64 v[140:143], v107 offset0:80 offset1:136
	v_mov_b32_e32 v151, v153
	v_mov_b32_e32 v145, v147
	;; [unrolled: 1-line block ×4, first 2 shown]
	v_fma_f32 v133, v132, v46, -v96
	v_fma_f32 v146, v134, v42, -v98
	s_waitcnt lgkmcnt(1)
	v_mul_f32_e32 v96, v137, v25
	v_mov_b32_e32 v134, v137
	s_waitcnt lgkmcnt(0)
	v_mov_b32_e32 v137, v141
	v_mul_f32_e32 v98, v139, v29
	v_mov_b32_e32 v152, v139
	v_mov_b32_e32 v139, v143
	;; [unrolled: 1-line block ×6, first 2 shown]
	v_pk_add_f32 v[166:167], v[150:151], v[144:145]
	v_pk_add_f32 v[144:145], v[150:151], v[144:145] neg_lo:[0,1] neg_hi:[0,1]
	v_pk_add_f32 v[150:151], v[154:155], v[148:149]
	v_pk_add_f32 v[148:149], v[154:155], v[148:149] neg_lo:[0,1] neg_hi:[0,1]
	v_mov_b32_e32 v157, v48
	v_mov_b32_e32 v154, v46
	v_mov_b32_e32 v155, v38
	v_pk_mul_f32 v[162:163], v[136:137], v[162:163]
	v_pk_mul_f32 v[164:165], v[138:139], v[164:165]
	v_pk_fma_f32 v[154:155], v[156:157], v[154:155], v[158:159] neg_lo:[0,0,1] neg_hi:[0,0,1]
	v_pk_fma_f32 v[156:157], v[156:157], v[46:47], v[158:159]
	v_mov_b32_e32 v158, v153
	v_mov_b32_e32 v168, v147
	;; [unrolled: 1-line block ×4, first 2 shown]
	v_mul_f32_e32 v147, v143, v32
	v_mul_f32_e32 v139, v142, v33
	v_mov_b32_e32 v142, v24
	v_mov_b32_e32 v143, v36
	v_fma_f32 v136, v136, v24, -v96
	v_mul_f32_e32 v159, v49, v38
	v_mul_f32_e32 v169, v48, v39
	;; [unrolled: 1-line block ×4, first 2 shown]
	v_pk_fma_f32 v[142:143], v[134:135], v[142:143], v[162:163] neg_lo:[0,0,1] neg_hi:[0,0,1]
	v_pk_fma_f32 v[134:135], v[134:135], v[24:25], v[162:163]
	v_mov_b32_e32 v140, v133
	v_pk_add_f32 v[48:49], v[158:159], v[168:169]
	v_mov_b32_e32 v157, v155
	v_mov_b32_e32 v135, v143
	v_pk_add_f32 v[140:141], v[140:141], v[136:137]
	v_pk_add_f32 v[158:159], v[156:157], v[134:135]
	v_pk_add_f32 v[156:157], v[156:157], v[134:135] neg_lo:[0,1] neg_hi:[0,1]
	v_mov_b32_e32 v132, v49
	v_mov_b32_e32 v135, v136
	;; [unrolled: 1-line block ×3, first 2 shown]
	v_pk_add_f32 v[136:137], v[132:133], v[134:135] neg_lo:[0,1] neg_hi:[0,1]
	v_mov_b32_e32 v132, v155
	v_mov_b32_e32 v133, v166
	v_mov_b32_e32 v134, v143
	v_mov_b32_e32 v135, v158
	v_pk_add_f32 v[132:133], v[134:135], v[132:133]
	v_pk_add_f32 v[134:135], v[140:141], v[48:49]
	v_mov_b32_e32 v142, v132
	v_mov_b32_e32 v49, v135
	;; [unrolled: 1-line block ×4, first 2 shown]
	v_pk_add_f32 v[162:163], v[134:135], v[132:133]
	v_mov_b32_e32 v132, v144
	v_mov_b32_e32 v133, v157
	v_pk_add_f32 v[142:143], v[48:49], v[142:143] neg_lo:[0,1] neg_hi:[0,1]
	v_mov_b32_e32 v49, v166
	v_mov_b32_e32 v155, v166
	v_pk_add_f32 v[166:167], v[132:133], v[136:137] neg_lo:[0,1] neg_hi:[0,1]
	;; [unrolled: 3-line block ×3, first 2 shown]
	v_mov_b32_e32 v141, v135
	v_pk_mul_f32 v[168:169], v[132:133], s[18:19]
	ds_read2_b64 v[132:135], v52 offset1:56
	v_pk_add_f32 v[154:155], v[154:155], v[140:141] neg_lo:[0,1] neg_hi:[0,1]
	v_mov_b32_e32 v141, v158
	v_pk_mul_f32 v[154:155], v[154:155], s[8:9]
	v_pk_add_f32 v[170:171], v[156:157], v[136:137]
	v_pk_fma_f32 v[172:173], v[142:143], s[2:3], v[154:155]
	v_mov_b32_e32 v157, v137
	v_pk_add_f32 v[48:49], v[140:141], v[48:49] neg_lo:[0,1] neg_hi:[0,1]
	v_pk_mul_f32 v[140:141], v[166:167], s[16:17]
	v_pk_mul_f32 v[142:143], v[142:143], s[2:3]
	v_pk_add_f32 v[170:171], v[170:171], v[144:145]
	s_waitcnt lgkmcnt(0)
	v_pk_add_f32 v[132:133], v[132:133], v[162:163]
	v_pk_fma_f32 v[174:175], v[166:167], s[16:17], v[168:169]
	v_pk_add_f32 v[136:137], v[156:157], v[144:145] neg_lo:[0,1] neg_hi:[0,1]
	v_mov_b32_e32 v144, v142
	v_mov_b32_e32 v145, v155
	;; [unrolled: 1-line block ×6, first 2 shown]
	v_pk_fma_f32 v[162:163], v[162:163], s[6:7], v[132:133] op_sel_hi:[1,0,1] neg_lo:[1,0,0] neg_hi:[1,0,0]
	v_pk_fma_f32 v[144:145], v[48:49], s[12:13], v[144:145] op_sel_hi:[1,0,1] neg_lo:[1,0,1] neg_hi:[1,0,1]
	;; [unrolled: 1-line block ×5, first 2 shown]
	v_pk_add_f32 v[48:49], v[48:49], v[162:163]
	v_pk_fma_f32 v[136:137], v[170:171], s[14:15], v[136:137] op_sel_hi:[1,0,1]
	v_mov_b32_e32 v101, v50
	v_pk_add_f32 v[140:141], v[48:49], v[136:137] neg_lo:[0,1] neg_hi:[0,1]
	v_pk_add_f32 v[48:49], v[48:49], v[136:137]
	v_mov_b32_e32 v136, v140
	v_mov_b32_e32 v137, v49
	v_mov_b32_e32 v49, v141
	ds_write_b64 v52, v[48:49] offset:3584
	v_mov_b32_e32 v48, v28
	v_mov_b32_e32 v49, v32
	;; [unrolled: 1-line block ×4, first 2 shown]
	ds_write_b64 v52, v[136:137] offset:2688
	v_pk_fma_f32 v[48:49], v[152:153], v[48:49], v[164:165] neg_lo:[0,0,1] neg_hi:[0,0,1]
	v_pk_fma_f32 v[136:137], v[152:153], v[28:29], v[164:165]
	v_pk_fma_f32 v[142:143], v[100:101], v[142:143], v[160:161] neg_lo:[0,0,1] neg_hi:[0,0,1]
	v_pk_fma_f32 v[100:101], v[100:101], v[42:43], v[160:161]
	v_fma_f32 v138, v138, v28, -v98
	v_mul_f32_e32 v51, v51, v34
	v_mul_f32_e32 v141, v50, v35
	v_mov_b32_e32 v50, v99
	v_mov_b32_e32 v140, v97
	;; [unrolled: 1-line block ×4, first 2 shown]
	v_pk_add_f32 v[50:51], v[50:51], v[140:141]
	v_pk_add_f32 v[96:97], v[100:101], v[136:137]
	v_pk_add_f32 v[98:99], v[100:101], v[136:137] neg_lo:[0,1] neg_hi:[0,1]
	v_pk_add_f32 v[100:101], v[146:147], v[138:139]
	v_mov_b32_e32 v137, v138
	v_mov_b32_e32 v136, v101
	;; [unrolled: 1-line block ×4, first 2 shown]
	v_pk_add_f32 v[136:137], v[138:139], v[136:137] neg_lo:[0,1] neg_hi:[0,1]
	v_mov_b32_e32 v138, v143
	v_mov_b32_e32 v139, v150
	v_mov_b32_e32 v48, v49
	v_mov_b32_e32 v49, v96
	v_pk_add_f32 v[172:173], v[172:173], v[162:163]
	v_pk_fma_f32 v[174:175], v[170:171], s[14:15], v[174:175] op_sel_hi:[1,0,1]
	v_pk_add_f32 v[144:145], v[144:145], v[162:163]
	v_pk_fma_f32 v[156:157], v[170:171], s[14:15], v[156:157] op_sel_hi:[1,0,1]
	v_pk_add_f32 v[48:49], v[48:49], v[138:139]
	v_pk_add_f32 v[138:139], v[100:101], v[50:51]
	;; [unrolled: 1-line block ×3, first 2 shown]
	v_pk_add_f32 v[172:173], v[172:173], v[174:175] neg_lo:[0,1] neg_hi:[0,1]
	v_pk_add_f32 v[158:159], v[144:145], v[156:157]
	v_pk_add_f32 v[144:145], v[144:145], v[156:157] neg_lo:[0,1] neg_hi:[0,1]
	v_mov_b32_e32 v140, v48
	v_mov_b32_e32 v142, v48
	v_pk_add_f32 v[48:49], v[138:139], v[48:49]
	v_mov_b32_e32 v174, v172
	v_mov_b32_e32 v175, v177
	;; [unrolled: 1-line block ×6, first 2 shown]
	v_pk_add_f32 v[134:135], v[134:135], v[48:49]
	ds_write_b64 v52, v[174:175] offset:5376
	ds_write_b64 v52, v[176:177] offset:896
	;; [unrolled: 1-line block ×4, first 2 shown]
	v_mov_b32_e32 v51, v139
	v_mov_b32_e32 v141, v96
	;; [unrolled: 1-line block ×4, first 2 shown]
	ds_write2_b64 v52, v[132:133], v[134:135] offset1:56
	v_pk_fma_f32 v[48:49], v[48:49], s[6:7], v[134:135] op_sel_hi:[1,0,1] neg_lo:[1,0,0] neg_hi:[1,0,0]
	v_mov_b32_e32 v132, v148
	v_mov_b32_e32 v133, v99
	;; [unrolled: 1-line block ×4, first 2 shown]
	v_pk_add_f32 v[140:141], v[50:51], v[140:141] neg_lo:[0,1] neg_hi:[0,1]
	v_mov_b32_e32 v51, v150
	v_pk_add_f32 v[132:133], v[132:133], v[136:137] neg_lo:[0,1] neg_hi:[0,1]
	v_pk_add_f32 v[134:135], v[134:135], v[98:99] neg_lo:[0,1] neg_hi:[0,1]
	;; [unrolled: 1-line block ×3, first 2 shown]
	v_mov_b32_e32 v101, v96
	v_pk_mul_f32 v[134:135], v[134:135], s[18:19]
	v_pk_add_f32 v[138:139], v[98:99], v[136:137]
	v_pk_mul_f32 v[142:143], v[142:143], s[8:9]
	v_mov_b32_e32 v99, v137
	v_pk_add_f32 v[50:51], v[100:101], v[50:51] neg_lo:[0,1] neg_hi:[0,1]
	v_pk_mul_f32 v[96:97], v[132:133], s[16:17]
	v_pk_mul_f32 v[100:101], v[140:141], s[2:3]
	v_pk_add_f32 v[138:139], v[138:139], v[148:149]
	v_pk_fma_f32 v[144:145], v[140:141], s[2:3], v[142:143]
	v_pk_fma_f32 v[146:147], v[132:133], s[16:17], v[134:135]
	v_pk_add_f32 v[98:99], v[98:99], v[148:149] neg_lo:[0,1] neg_hi:[0,1]
	v_mov_b32_e32 v132, v100
	v_mov_b32_e32 v133, v143
	;; [unrolled: 1-line block ×6, first 2 shown]
	v_pk_add_f32 v[144:145], v[144:145], v[48:49]
	v_pk_fma_f32 v[146:147], v[138:139], s[14:15], v[146:147] op_sel_hi:[1,0,1]
	v_pk_fma_f32 v[132:133], v[50:51], s[12:13], v[132:133] op_sel_hi:[1,0,1] neg_lo:[1,0,1] neg_hi:[1,0,1]
	v_pk_fma_f32 v[136:137], v[98:99], s[20:21], v[136:137] op_sel_hi:[1,0,1] neg_lo:[1,0,1] neg_hi:[1,0,1]
	;; [unrolled: 1-line block ×4, first 2 shown]
	v_pk_add_f32 v[150:151], v[144:145], v[146:147]
	v_pk_add_f32 v[144:145], v[144:145], v[146:147] neg_lo:[0,1] neg_hi:[0,1]
	v_pk_add_f32 v[132:133], v[132:133], v[48:49]
	v_pk_fma_f32 v[136:137], v[138:139], s[14:15], v[136:137] op_sel_hi:[1,0,1]
	v_pk_add_f32 v[48:49], v[50:51], v[48:49]
	v_pk_fma_f32 v[50:51], v[138:139], s[14:15], v[96:97] op_sel_hi:[1,0,1]
	v_pk_add_f32 v[140:141], v[132:133], v[136:137]
	v_pk_add_f32 v[132:133], v[132:133], v[136:137] neg_lo:[0,1] neg_hi:[0,1]
	v_pk_add_f32 v[96:97], v[48:49], v[50:51] neg_lo:[0,1] neg_hi:[0,1]
	v_pk_add_f32 v[48:49], v[48:49], v[50:51]
	v_mov_b32_e32 v50, v150
	v_mov_b32_e32 v51, v145
	ds_write_b64 v52, v[50:51] offset:1344
	v_mov_b32_e32 v50, v140
	v_mov_b32_e32 v51, v133
	ds_write_b64 v52, v[50:51] offset:2240
	v_mov_b32_e32 v50, v96
	v_mov_b32_e32 v51, v49
	;; [unrolled: 1-line block ×5, first 2 shown]
	ds_write_b64 v52, v[50:51] offset:3136
	ds_write_b64 v52, v[48:49] offset:4032
	;; [unrolled: 1-line block ×4, first 2 shown]
	s_waitcnt lgkmcnt(0)
	; wave barrier
	s_waitcnt lgkmcnt(0)
	global_load_dwordx2 v[94:95], v[94:95], off offset:2176
	v_lshl_add_u64 v[48:49], v[88:89], 0, s[10:11]
	global_load_dwordx2 v[98:99], v[48:49], off offset:448
	global_load_dwordx2 v[100:101], v[48:49], off offset:3584
	;; [unrolled: 1-line block ×5, first 2 shown]
	s_movk_i32 s7, 0x2000
	v_add_co_u32_e32 v50, vcc, s7, v88
	s_mov_b32 s16, 0x3f08b237
	s_nop 0
	v_addc_co_u32_e32 v51, vcc, 0, v89, vcc
	global_load_dwordx2 v[88:89], v[50:51], off offset:2560
	global_load_dwordx2 v[138:139], v[50:51], off offset:3008
	;; [unrolled: 1-line block ×8, first 2 shown]
	ds_read2_b64 v[48:51], v52 offset1:56
	s_mov_b32 s17, 0xbeae86e6
	s_mov_b32 s14, s17
	;; [unrolled: 1-line block ×5, first 2 shown]
	s_waitcnt vmcnt(12) lgkmcnt(0)
	v_mul_f32_e32 v153, v50, v99
	v_fmac_f32_e32 v153, v51, v98
	v_mul_f32_e32 v96, v49, v95
	v_mul_f32_e32 v97, v48, v95
	v_fma_f32 v96, v48, v94, -v96
	v_fmac_f32_e32 v97, v49, v94
	ds_write_b64 v52, v[96:97]
	ds_read2_b64 v[94:97], v107 offset0:192 offset1:248
	v_mul_f32_e32 v48, v51, v99
	v_fma_f32 v152, v50, v98, -v48
	s_waitcnt vmcnt(11) lgkmcnt(0)
	v_mul_f32_e32 v48, v95, v101
	v_fma_f32 v98, v94, v100, -v48
	ds_read2_b64 v[48:51], v52 offset0:112 offset1:168
	v_mul_f32_e32 v99, v94, v101
	s_waitcnt vmcnt(10)
	v_mul_f32_e32 v94, v97, v133
	v_fmac_f32_e32 v99, v95, v100
	v_fma_f32 v100, v96, v132, -v94
	v_mul_f32_e32 v101, v96, v133
	s_waitcnt vmcnt(9) lgkmcnt(0)
	v_mul_f32_e32 v94, v49, v135
	v_fmac_f32_e32 v101, v97, v132
	v_fma_f32 v132, v48, v134, -v94
	ds_read2_b64 v[94:97], v53 offset0:48 offset1:104
	v_mul_f32_e32 v133, v48, v135
	s_waitcnt vmcnt(8)
	v_mul_f32_e32 v48, v51, v137
	v_fmac_f32_e32 v133, v49, v134
	v_fma_f32 v134, v50, v136, -v48
	v_mul_f32_e32 v135, v50, v137
	s_waitcnt vmcnt(7) lgkmcnt(0)
	v_mul_f32_e32 v48, v95, v89
	v_fmac_f32_e32 v135, v51, v136
	v_fma_f32 v136, v94, v88, -v48
	ds_read2_b64 v[48:51], v106 offset0:96 offset1:152
	v_mul_f32_e32 v137, v94, v89
	v_fmac_f32_e32 v137, v95, v88
	s_waitcnt vmcnt(6)
	v_mul_f32_e32 v88, v97, v139
	v_mul_f32_e32 v89, v96, v139
	s_waitcnt vmcnt(5) lgkmcnt(0)
	v_mul_f32_e32 v94, v49, v141
	v_fma_f32 v88, v96, v138, -v88
	v_fmac_f32_e32 v89, v97, v138
	v_fma_f32 v138, v48, v140, -v94
	ds_read2_b64 v[94:97], v107 offset0:80 offset1:136
	v_mul_f32_e32 v139, v48, v141
	s_waitcnt vmcnt(4)
	v_mul_f32_e32 v48, v51, v143
	v_fmac_f32_e32 v139, v49, v140
	v_fma_f32 v140, v50, v142, -v48
	v_mul_f32_e32 v141, v50, v143
	s_waitcnt vmcnt(3) lgkmcnt(0)
	v_mul_f32_e32 v48, v97, v145
	v_fmac_f32_e32 v141, v51, v142
	v_fma_f32 v142, v96, v144, -v48
	ds_read2_b64 v[48:51], v53 offset0:160 offset1:216
	v_mul_f32_e32 v143, v96, v145
	v_fmac_f32_e32 v143, v97, v144
	s_waitcnt vmcnt(2)
	v_mul_f32_e32 v96, v95, v147
	v_mul_f32_e32 v97, v94, v147
	v_fma_f32 v96, v94, v146, -v96
	v_fmac_f32_e32 v97, v95, v146
	s_waitcnt vmcnt(1) lgkmcnt(0)
	v_mul_f32_e32 v94, v49, v149
	v_mul_f32_e32 v95, v48, v149
	v_fma_f32 v94, v48, v148, -v94
	v_fmac_f32_e32 v95, v49, v148
	s_waitcnt vmcnt(0)
	v_mul_f32_e32 v48, v51, v151
	v_mul_f32_e32 v49, v50, v151
	v_fma_f32 v48, v50, v150, -v48
	v_fmac_f32_e32 v49, v51, v150
	v_add_u32_e32 v50, 0xc00, v52
	ds_write2_b64 v50, v[100:101], v[136:137] offset0:120 offset1:176
	ds_write2_b64 v107, v[142:143], v[98:99] offset0:136 offset1:192
	;; [unrolled: 1-line block ×6, first 2 shown]
	ds_write_b64 v52, v[48:49] offset:5824
	s_waitcnt lgkmcnt(0)
	; wave barrier
	s_waitcnt lgkmcnt(0)
	ds_read2_b64 v[48:51], v52 offset1:56
	ds_read2_b64 v[94:97], v107 offset0:80 offset1:136
	ds_read2_b64 v[98:101], v107 offset0:192 offset1:248
	s_waitcnt lgkmcnt(1)
	v_pk_add_f32 v[134:135], v[48:49], v[96:97] neg_lo:[0,1] neg_hi:[0,1]
	s_waitcnt lgkmcnt(0)
	v_pk_add_f32 v[98:99], v[50:51], v[98:99] neg_lo:[0,1] neg_hi:[0,1]
	v_pk_fma_f32 v[132:133], v[48:49], 2.0, v[134:135] op_sel_hi:[1,0,1] neg_lo:[0,0,1] neg_hi:[0,0,1]
	v_pk_fma_f32 v[96:97], v[50:51], 2.0, v[98:99] op_sel_hi:[1,0,1] neg_lo:[0,0,1] neg_hi:[0,0,1]
	ds_read2_b64 v[48:51], v52 offset0:112 offset1:168
	ds_read2_b64 v[136:139], v53 offset0:48 offset1:104
	;; [unrolled: 1-line block ×4, first 2 shown]
	s_waitcnt lgkmcnt(0)
	; wave barrier
	s_waitcnt lgkmcnt(0)
	ds_write_b128 v108, v[132:135]
	ds_write_b128 v108, v[96:99] offset:896
	v_pk_add_f32 v[134:135], v[50:51], v[136:137] neg_lo:[0,1] neg_hi:[0,1]
	v_pk_add_f32 v[98:99], v[48:49], v[100:101] neg_lo:[0,1] neg_hi:[0,1]
	v_pk_fma_f32 v[132:133], v[50:51], 2.0, v[134:135] op_sel_hi:[1,0,1] neg_lo:[0,0,1] neg_hi:[0,0,1]
	v_pk_add_f32 v[50:51], v[140:141], v[138:139] neg_lo:[0,1] neg_hi:[0,1]
	v_pk_add_f32 v[138:139], v[142:143], v[144:145] neg_lo:[0,1] neg_hi:[0,1]
	v_pk_fma_f32 v[96:97], v[48:49], 2.0, v[98:99] op_sel_hi:[1,0,1] neg_lo:[0,0,1] neg_hi:[0,0,1]
	v_pk_fma_f32 v[48:49], v[140:141], 2.0, v[50:51] op_sel_hi:[1,0,1] neg_lo:[0,0,1] neg_hi:[0,0,1]
	;; [unrolled: 1-line block ×3, first 2 shown]
	v_pk_add_f32 v[142:143], v[94:95], v[146:147] neg_lo:[0,1] neg_hi:[0,1]
	s_nop 0
	v_pk_fma_f32 v[140:141], v[94:95], 2.0, v[142:143] op_sel_hi:[1,0,1] neg_lo:[0,0,1] neg_hi:[0,0,1]
	ds_write_b128 v57, v[96:99] offset:1792
	ds_write_b128 v57, v[132:135] offset:2688
	;; [unrolled: 1-line block ×5, first 2 shown]
	s_waitcnt lgkmcnt(0)
	; wave barrier
	s_waitcnt lgkmcnt(0)
	ds_read2_b64 v[48:51], v53 offset0:160 offset1:216
	ds_read2_b64 v[94:97], v53 offset0:48 offset1:104
	v_mov_b32_e32 v57, v66
	s_waitcnt lgkmcnt(1)
	v_pk_mul_f32 v[88:89], v[86:87], v[50:51] op_sel:[1,0]
	s_nop 0
	v_pk_fma_f32 v[100:101], v[86:87], v[50:51], v[88:89] op_sel:[0,0,1] op_sel_hi:[1,1,0]
	v_pk_fma_f32 v[132:133], v[86:87], v[50:51], v[88:89] op_sel:[0,0,1] op_sel_hi:[0,1,0] neg_lo:[0,0,1] neg_hi:[0,0,1]
	v_pk_mul_f32 v[50:51], v[86:87], v[48:49] op_sel:[1,0]
	s_waitcnt lgkmcnt(0)
	v_pk_mul_f32 v[88:89], v[86:87], v[96:97] op_sel:[1,0]
	v_pk_fma_f32 v[134:135], v[86:87], v[48:49], v[50:51] op_sel:[0,0,1] op_sel_hi:[1,1,0]
	v_pk_fma_f32 v[136:137], v[86:87], v[48:49], v[50:51] op_sel:[0,0,1] op_sel_hi:[0,1,0] neg_lo:[0,0,1] neg_hi:[0,0,1]
	ds_read2_b64 v[48:51], v107 offset0:192 offset1:248
	v_pk_fma_f32 v[138:139], v[86:87], v[96:97], v[88:89] op_sel:[0,0,1] op_sel_hi:[1,1,0]
	v_pk_fma_f32 v[140:141], v[86:87], v[96:97], v[88:89] op_sel:[0,0,1] op_sel_hi:[0,1,0] neg_lo:[0,0,1] neg_hi:[0,0,1]
	v_pk_mul_f32 v[88:89], v[86:87], v[94:95] op_sel:[1,0]
	v_mov_b32_e32 v139, v141
	v_pk_fma_f32 v[142:143], v[86:87], v[94:95], v[88:89] op_sel:[0,0,1] op_sel_hi:[1,1,0]
	v_pk_fma_f32 v[144:145], v[86:87], v[94:95], v[88:89] op_sel:[0,0,1] op_sel_hi:[0,1,0] neg_lo:[0,0,1] neg_hi:[0,0,1]
	ds_read2_b64 v[94:97], v107 offset0:80 offset1:136
	s_waitcnt lgkmcnt(1)
	v_pk_mul_f32 v[88:89], v[86:87], v[50:51] op_sel:[1,0]
	v_mov_b32_e32 v143, v145
	v_pk_fma_f32 v[146:147], v[86:87], v[50:51], v[88:89] op_sel:[0,0,1] op_sel_hi:[1,1,0]
	v_pk_fma_f32 v[148:149], v[86:87], v[50:51], v[88:89] op_sel:[0,0,1] op_sel_hi:[0,1,0] neg_lo:[0,0,1] neg_hi:[0,0,1]
	v_pk_mul_f32 v[50:51], v[86:87], v[48:49] op_sel:[1,0]
	s_waitcnt lgkmcnt(0)
	v_pk_mul_f32 v[88:89], v[86:87], v[96:97] op_sel:[1,0]
	v_pk_fma_f32 v[150:151], v[86:87], v[48:49], v[50:51] op_sel:[0,0,1] op_sel_hi:[1,1,0]
	v_pk_fma_f32 v[152:153], v[86:87], v[48:49], v[50:51] op_sel:[0,0,1] op_sel_hi:[0,1,0] neg_lo:[0,0,1] neg_hi:[0,0,1]
	ds_read2_b64 v[48:51], v52 offset1:56
	v_pk_fma_f32 v[98:99], v[86:87], v[96:97], v[88:89] op_sel:[0,0,1] op_sel_hi:[1,1,0]
	v_pk_fma_f32 v[86:87], v[86:87], v[96:97], v[88:89] op_sel:[0,0,1] op_sel_hi:[0,1,0] neg_lo:[0,0,1] neg_hi:[0,0,1]
	v_mov_b32_e32 v99, v87
	v_mov_b32_e32 v151, v153
	s_waitcnt lgkmcnt(0)
	v_pk_add_f32 v[154:155], v[48:49], v[98:99] neg_lo:[0,1] neg_hi:[0,1]
	ds_read2_b64 v[86:89], v106 offset0:96 offset1:152
	ds_read2_b64 v[96:99], v52 offset0:112 offset1:168
	v_pk_fma_f32 v[48:49], v[48:49], 2.0, v[154:155] op_sel_hi:[1,0,1] neg_lo:[0,0,1] neg_hi:[0,0,1]
	s_waitcnt lgkmcnt(0)
	; wave barrier
	s_waitcnt lgkmcnt(0)
	ds_write2_b64 v109, v[48:49], v[154:155] offset1:2
	v_pk_add_f32 v[48:49], v[50:51], v[150:151] neg_lo:[0,1] neg_hi:[0,1]
	v_mov_b32_e32 v147, v149
	v_pk_fma_f32 v[50:51], v[50:51], 2.0, v[48:49] op_sel_hi:[1,0,1] neg_lo:[0,0,1] neg_hi:[0,0,1]
	ds_write2_b64 v110, v[50:51], v[48:49] offset1:2
	v_pk_add_f32 v[48:49], v[96:97], v[146:147] neg_lo:[0,1] neg_hi:[0,1]
	v_mov_b32_e32 v135, v137
	v_pk_fma_f32 v[50:51], v[96:97], 2.0, v[48:49] op_sel_hi:[1,0,1] neg_lo:[0,0,1] neg_hi:[0,0,1]
	ds_write2_b64 v111, v[50:51], v[48:49] offset1:2
	v_pk_add_f32 v[48:49], v[98:99], v[142:143] neg_lo:[0,1] neg_hi:[0,1]
	v_mov_b32_e32 v101, v133
	v_pk_fma_f32 v[50:51], v[98:99], 2.0, v[48:49] op_sel_hi:[1,0,1] neg_lo:[0,0,1] neg_hi:[0,0,1]
	ds_write2_b64 v112, v[50:51], v[48:49] offset1:2
	v_pk_add_f32 v[48:49], v[86:87], v[138:139] neg_lo:[0,1] neg_hi:[0,1]
	s_nop 0
	v_pk_fma_f32 v[50:51], v[86:87], 2.0, v[48:49] op_sel_hi:[1,0,1] neg_lo:[0,0,1] neg_hi:[0,0,1]
	ds_write2_b64 v113, v[50:51], v[48:49] offset1:2
	v_pk_add_f32 v[48:49], v[88:89], v[134:135] neg_lo:[0,1] neg_hi:[0,1]
	s_nop 0
	v_pk_fma_f32 v[50:51], v[88:89], 2.0, v[48:49] op_sel_hi:[1,0,1] neg_lo:[0,0,1] neg_hi:[0,0,1]
	ds_write2_b64 v114, v[50:51], v[48:49] offset1:2
	v_pk_add_f32 v[48:49], v[94:95], v[100:101] neg_lo:[0,1] neg_hi:[0,1]
	s_nop 0
	v_pk_fma_f32 v[50:51], v[94:95], 2.0, v[48:49] op_sel_hi:[1,0,1] neg_lo:[0,0,1] neg_hi:[0,0,1]
	ds_write2_b64 v115, v[50:51], v[48:49] offset1:2
	s_waitcnt lgkmcnt(0)
	; wave barrier
	s_waitcnt lgkmcnt(0)
	ds_read2_b64 v[48:51], v53 offset0:160 offset1:216
	ds_read2_b64 v[86:89], v53 offset0:48 offset1:104
	s_waitcnt lgkmcnt(1)
	v_pk_mul_f32 v[94:95], v[90:91], v[50:51] op_sel:[1,0]
	s_nop 0
	v_pk_fma_f32 v[98:99], v[90:91], v[50:51], v[94:95] op_sel:[0,0,1] op_sel_hi:[1,1,0]
	v_pk_fma_f32 v[100:101], v[90:91], v[50:51], v[94:95] op_sel:[0,0,1] op_sel_hi:[0,1,0] neg_lo:[0,0,1] neg_hi:[0,0,1]
	v_pk_mul_f32 v[50:51], v[90:91], v[48:49] op_sel:[1,0]
	s_waitcnt lgkmcnt(0)
	v_pk_mul_f32 v[94:95], v[90:91], v[88:89] op_sel:[1,0]
	v_pk_fma_f32 v[108:109], v[90:91], v[48:49], v[50:51] op_sel:[0,0,1] op_sel_hi:[1,1,0]
	v_pk_fma_f32 v[110:111], v[90:91], v[48:49], v[50:51] op_sel:[0,0,1] op_sel_hi:[0,1,0] neg_lo:[0,0,1] neg_hi:[0,0,1]
	ds_read2_b64 v[48:51], v107 offset0:192 offset1:248
	v_pk_fma_f32 v[112:113], v[90:91], v[88:89], v[94:95] op_sel:[0,0,1] op_sel_hi:[1,1,0]
	v_pk_fma_f32 v[114:115], v[90:91], v[88:89], v[94:95] op_sel:[0,0,1] op_sel_hi:[0,1,0] neg_lo:[0,0,1] neg_hi:[0,0,1]
	v_pk_mul_f32 v[88:89], v[90:91], v[86:87] op_sel:[1,0]
	v_mov_b32_e32 v113, v115
	v_pk_fma_f32 v[132:133], v[90:91], v[86:87], v[88:89] op_sel:[0,0,1] op_sel_hi:[1,1,0]
	v_pk_fma_f32 v[134:135], v[90:91], v[86:87], v[88:89] op_sel:[0,0,1] op_sel_hi:[0,1,0] neg_lo:[0,0,1] neg_hi:[0,0,1]
	s_waitcnt lgkmcnt(0)
	v_pk_mul_f32 v[86:87], v[90:91], v[50:51] op_sel:[1,0]
	v_mov_b32_e32 v133, v135
	v_pk_fma_f32 v[136:137], v[90:91], v[50:51], v[86:87] op_sel:[0,0,1] op_sel_hi:[1,1,0]
	v_pk_fma_f32 v[138:139], v[90:91], v[50:51], v[86:87] op_sel:[0,0,1] op_sel_hi:[0,1,0] neg_lo:[0,0,1] neg_hi:[0,0,1]
	ds_read2_b64 v[86:89], v107 offset0:80 offset1:136
	v_pk_mul_f32 v[50:51], v[90:91], v[48:49] op_sel:[1,0]
	v_mov_b32_e32 v137, v139
	v_pk_fma_f32 v[140:141], v[90:91], v[48:49], v[50:51] op_sel:[0,0,1] op_sel_hi:[1,1,0]
	v_pk_fma_f32 v[142:143], v[90:91], v[48:49], v[50:51] op_sel:[0,0,1] op_sel_hi:[0,1,0] neg_lo:[0,0,1] neg_hi:[0,0,1]
	ds_read2_b64 v[48:51], v52 offset1:56
	s_waitcnt lgkmcnt(1)
	v_pk_mul_f32 v[94:95], v[90:91], v[88:89] op_sel:[1,0]
	v_mov_b32_e32 v141, v143
	v_pk_fma_f32 v[96:97], v[90:91], v[88:89], v[94:95] op_sel:[0,0,1] op_sel_hi:[1,1,0]
	v_pk_fma_f32 v[88:89], v[90:91], v[88:89], v[94:95] op_sel:[0,0,1] op_sel_hi:[0,1,0] neg_lo:[0,0,1] neg_hi:[0,0,1]
	v_mov_b32_e32 v97, v89
	s_waitcnt lgkmcnt(0)
	v_pk_add_f32 v[144:145], v[48:49], v[96:97] neg_lo:[0,1] neg_hi:[0,1]
	ds_read2_b64 v[88:91], v106 offset0:96 offset1:152
	ds_read2_b64 v[94:97], v52 offset0:112 offset1:168
	v_pk_fma_f32 v[48:49], v[48:49], 2.0, v[144:145] op_sel_hi:[1,0,1] neg_lo:[0,0,1] neg_hi:[0,0,1]
	s_waitcnt lgkmcnt(0)
	; wave barrier
	s_waitcnt lgkmcnt(0)
	ds_write2_b64 v116, v[48:49], v[144:145] offset1:4
	v_pk_add_f32 v[48:49], v[50:51], v[140:141] neg_lo:[0,1] neg_hi:[0,1]
	v_mov_b32_e32 v109, v111
	v_pk_fma_f32 v[50:51], v[50:51], 2.0, v[48:49] op_sel_hi:[1,0,1] neg_lo:[0,0,1] neg_hi:[0,0,1]
	ds_write2_b64 v117, v[50:51], v[48:49] offset1:4
	v_pk_add_f32 v[48:49], v[94:95], v[136:137] neg_lo:[0,1] neg_hi:[0,1]
	v_mov_b32_e32 v99, v101
	v_pk_fma_f32 v[50:51], v[94:95], 2.0, v[48:49] op_sel_hi:[1,0,1] neg_lo:[0,0,1] neg_hi:[0,0,1]
	ds_write2_b64 v118, v[50:51], v[48:49] offset1:4
	v_pk_add_f32 v[48:49], v[96:97], v[132:133] neg_lo:[0,1] neg_hi:[0,1]
	s_nop 0
	v_pk_fma_f32 v[50:51], v[96:97], 2.0, v[48:49] op_sel_hi:[1,0,1] neg_lo:[0,0,1] neg_hi:[0,0,1]
	ds_write2_b64 v119, v[50:51], v[48:49] offset1:4
	v_pk_add_f32 v[48:49], v[88:89], v[112:113] neg_lo:[0,1] neg_hi:[0,1]
	s_nop 0
	;; [unrolled: 4-line block ×4, first 2 shown]
	v_pk_fma_f32 v[50:51], v[86:87], 2.0, v[48:49] op_sel_hi:[1,0,1] neg_lo:[0,0,1] neg_hi:[0,0,1]
	ds_write2_b64 v122, v[50:51], v[48:49] offset1:4
	s_waitcnt lgkmcnt(0)
	; wave barrier
	s_waitcnt lgkmcnt(0)
	ds_read2_b64 v[48:51], v53 offset0:160 offset1:216
	ds_read2_b64 v[86:89], v53 offset0:48 offset1:104
	s_waitcnt lgkmcnt(1)
	v_pk_mul_f32 v[90:91], v[92:93], v[50:51] op_sel:[1,0]
	s_nop 0
	v_pk_fma_f32 v[96:97], v[92:93], v[50:51], v[90:91] op_sel:[0,0,1] op_sel_hi:[1,1,0]
	v_pk_fma_f32 v[98:99], v[92:93], v[50:51], v[90:91] op_sel:[0,0,1] op_sel_hi:[0,1,0] neg_lo:[0,0,1] neg_hi:[0,0,1]
	v_pk_mul_f32 v[50:51], v[92:93], v[48:49] op_sel:[1,0]
	s_waitcnt lgkmcnt(0)
	v_pk_mul_f32 v[90:91], v[92:93], v[88:89] op_sel:[1,0]
	v_pk_fma_f32 v[100:101], v[92:93], v[48:49], v[50:51] op_sel:[0,0,1] op_sel_hi:[1,1,0]
	v_pk_fma_f32 v[108:109], v[92:93], v[48:49], v[50:51] op_sel:[0,0,1] op_sel_hi:[0,1,0] neg_lo:[0,0,1] neg_hi:[0,0,1]
	ds_read2_b64 v[48:51], v107 offset0:192 offset1:248
	v_pk_fma_f32 v[110:111], v[92:93], v[88:89], v[90:91] op_sel:[0,0,1] op_sel_hi:[1,1,0]
	v_pk_fma_f32 v[112:113], v[92:93], v[88:89], v[90:91] op_sel:[0,0,1] op_sel_hi:[0,1,0] neg_lo:[0,0,1] neg_hi:[0,0,1]
	v_pk_mul_f32 v[88:89], v[92:93], v[86:87] op_sel:[1,0]
	v_mov_b32_e32 v111, v113
	v_pk_fma_f32 v[114:115], v[92:93], v[86:87], v[88:89] op_sel:[0,0,1] op_sel_hi:[1,1,0]
	v_pk_fma_f32 v[116:117], v[92:93], v[86:87], v[88:89] op_sel:[0,0,1] op_sel_hi:[0,1,0] neg_lo:[0,0,1] neg_hi:[0,0,1]
	s_waitcnt lgkmcnt(0)
	v_pk_mul_f32 v[86:87], v[92:93], v[50:51] op_sel:[1,0]
	v_mov_b32_e32 v115, v117
	v_pk_fma_f32 v[118:119], v[92:93], v[50:51], v[86:87] op_sel:[0,0,1] op_sel_hi:[1,1,0]
	v_pk_fma_f32 v[120:121], v[92:93], v[50:51], v[86:87] op_sel:[0,0,1] op_sel_hi:[0,1,0] neg_lo:[0,0,1] neg_hi:[0,0,1]
	ds_read2_b64 v[86:89], v107 offset0:80 offset1:136
	v_pk_mul_f32 v[50:51], v[92:93], v[48:49] op_sel:[1,0]
	v_mov_b32_e32 v119, v121
	v_pk_fma_f32 v[132:133], v[92:93], v[48:49], v[50:51] op_sel:[0,0,1] op_sel_hi:[1,1,0]
	v_pk_fma_f32 v[134:135], v[92:93], v[48:49], v[50:51] op_sel:[0,0,1] op_sel_hi:[0,1,0] neg_lo:[0,0,1] neg_hi:[0,0,1]
	ds_read2_b64 v[48:51], v52 offset1:56
	s_waitcnt lgkmcnt(1)
	v_pk_mul_f32 v[90:91], v[92:93], v[88:89] op_sel:[1,0]
	v_mov_b32_e32 v133, v135
	v_pk_fma_f32 v[94:95], v[92:93], v[88:89], v[90:91] op_sel:[0,0,1] op_sel_hi:[1,1,0]
	v_pk_fma_f32 v[88:89], v[92:93], v[88:89], v[90:91] op_sel:[0,0,1] op_sel_hi:[0,1,0] neg_lo:[0,0,1] neg_hi:[0,0,1]
	v_mov_b32_e32 v95, v89
	s_waitcnt lgkmcnt(0)
	v_pk_add_f32 v[136:137], v[48:49], v[94:95] neg_lo:[0,1] neg_hi:[0,1]
	ds_read2_b64 v[88:91], v106 offset0:96 offset1:152
	ds_read2_b64 v[92:95], v52 offset0:112 offset1:168
	v_pk_fma_f32 v[48:49], v[48:49], 2.0, v[136:137] op_sel_hi:[1,0,1] neg_lo:[0,0,1] neg_hi:[0,0,1]
	s_waitcnt lgkmcnt(0)
	; wave barrier
	s_waitcnt lgkmcnt(0)
	ds_write2_b64 v123, v[48:49], v[136:137] offset1:8
	v_pk_add_f32 v[48:49], v[50:51], v[132:133] neg_lo:[0,1] neg_hi:[0,1]
	v_mov_b32_e32 v101, v109
	v_pk_fma_f32 v[50:51], v[50:51], 2.0, v[48:49] op_sel_hi:[1,0,1] neg_lo:[0,0,1] neg_hi:[0,0,1]
	ds_write2_b64 v124, v[50:51], v[48:49] offset1:8
	v_pk_add_f32 v[48:49], v[92:93], v[118:119] neg_lo:[0,1] neg_hi:[0,1]
	v_mov_b32_e32 v97, v99
	v_pk_fma_f32 v[50:51], v[92:93], 2.0, v[48:49] op_sel_hi:[1,0,1] neg_lo:[0,0,1] neg_hi:[0,0,1]
	ds_write2_b64 v125, v[50:51], v[48:49] offset1:8
	v_pk_add_f32 v[48:49], v[94:95], v[114:115] neg_lo:[0,1] neg_hi:[0,1]
	s_nop 0
	v_pk_fma_f32 v[50:51], v[94:95], 2.0, v[48:49] op_sel_hi:[1,0,1] neg_lo:[0,0,1] neg_hi:[0,0,1]
	ds_write2_b64 v126, v[50:51], v[48:49] offset1:8
	v_pk_add_f32 v[48:49], v[88:89], v[110:111] neg_lo:[0,1] neg_hi:[0,1]
	s_nop 0
	;; [unrolled: 4-line block ×4, first 2 shown]
	v_pk_fma_f32 v[50:51], v[86:87], 2.0, v[48:49] op_sel_hi:[1,0,1] neg_lo:[0,0,1] neg_hi:[0,0,1]
	ds_write2_b64 v129, v[50:51], v[48:49] offset1:8
	s_waitcnt lgkmcnt(0)
	; wave barrier
	s_waitcnt lgkmcnt(0)
	ds_read2_b64 v[48:51], v52 offset0:112 offset1:168
	ds_read2_b64 v[86:89], v106 offset0:96 offset1:152
	s_waitcnt lgkmcnt(1)
	v_mov_b32_e32 v90, v49
	v_pk_mul_f32 v[92:93], v[16:17], v[48:49] op_sel_hi:[1,0]
	s_nop 0
	v_pk_fma_f32 v[90:91], v[16:17], v[90:91], v[92:93] op_sel:[0,0,1] op_sel_hi:[1,1,0] neg_lo:[0,0,1] neg_hi:[0,0,1]
	v_pk_fma_f32 v[92:93], v[16:17], v[48:49], v[92:93] op_sel:[0,1,1] op_sel_hi:[1,1,0]
	s_waitcnt lgkmcnt(0)
	v_mov_b32_e32 v16, v87
	v_pk_mul_f32 v[48:49], v[18:19], v[86:87] op_sel_hi:[1,0]
	v_mov_b32_e32 v91, v93
	v_pk_fma_f32 v[94:95], v[18:19], v[16:17], v[48:49] op_sel:[0,0,1] op_sel_hi:[1,1,0] neg_lo:[0,0,1] neg_hi:[0,0,1]
	v_pk_fma_f32 v[96:97], v[18:19], v[86:87], v[48:49] op_sel:[0,1,1] op_sel_hi:[1,1,0]
	v_pk_mul_f32 v[48:49], v[12:13], v[50:51] op_sel_hi:[1,0]
	v_mov_b32_e32 v18, v51
	v_pk_fma_f32 v[16:17], v[12:13], v[50:51], v[48:49] op_sel:[0,1,1] op_sel_hi:[1,1,0]
	v_pk_fma_f32 v[12:13], v[12:13], v[18:19], v[48:49] op_sel:[0,0,1] op_sel_hi:[1,1,0] neg_lo:[0,0,1] neg_hi:[0,0,1]
	v_mov_b32_e32 v16, v89
	ds_read2_b64 v[48:51], v53 offset0:48 offset1:104
	v_pk_mul_f32 v[86:87], v[14:15], v[88:89] op_sel_hi:[1,0]
	v_mov_b32_e32 v95, v97
	v_pk_fma_f32 v[18:19], v[14:15], v[88:89], v[86:87] op_sel:[0,1,1] op_sel_hi:[1,1,0]
	v_pk_fma_f32 v[14:15], v[14:15], v[16:17], v[86:87] op_sel:[0,0,1] op_sel_hi:[1,1,0] neg_lo:[0,0,1] neg_hi:[0,0,1]
	ds_read2_b64 v[86:89], v53 offset0:160 offset1:216
	s_waitcnt lgkmcnt(1)
	v_mov_b32_e32 v16, v49
	v_pk_mul_f32 v[98:99], v[4:5], v[48:49] op_sel_hi:[1,0]
	v_mov_b32_e32 v13, v17
	v_pk_fma_f32 v[100:101], v[4:5], v[16:17], v[98:99] op_sel:[0,0,1] op_sel_hi:[1,1,0] neg_lo:[0,0,1] neg_hi:[0,0,1]
	v_pk_fma_f32 v[98:99], v[4:5], v[48:49], v[98:99] op_sel:[0,1,1] op_sel_hi:[1,1,0]
	s_waitcnt lgkmcnt(0)
	v_mov_b32_e32 v4, v87
	v_pk_mul_f32 v[48:49], v[6:7], v[86:87] op_sel_hi:[1,0]
	v_mov_b32_e32 v16, v89
	v_pk_fma_f32 v[108:109], v[6:7], v[4:5], v[48:49] op_sel:[0,0,1] op_sel_hi:[1,1,0] neg_lo:[0,0,1] neg_hi:[0,0,1]
	v_pk_fma_f32 v[86:87], v[6:7], v[86:87], v[48:49] op_sel:[0,1,1] op_sel_hi:[1,1,0]
	v_mov_b32_e32 v4, v51
	v_pk_mul_f32 v[6:7], v[0:1], v[50:51] op_sel_hi:[1,0]
	v_pk_mul_f32 v[112:113], v[2:3], v[88:89] op_sel_hi:[1,0]
	v_pk_fma_f32 v[110:111], v[0:1], v[50:51], v[6:7] op_sel:[0,1,1] op_sel_hi:[1,1,0]
	v_pk_fma_f32 v[0:1], v[0:1], v[4:5], v[6:7] op_sel:[0,0,1] op_sel_hi:[1,1,0] neg_lo:[0,0,1] neg_hi:[0,0,1]
	ds_read2_b64 v[4:7], v107 offset0:80 offset1:136
	ds_read2_b64 v[48:51], v107 offset0:192 offset1:248
	v_pk_fma_f32 v[88:89], v[2:3], v[88:89], v[112:113] op_sel:[0,1,1] op_sel_hi:[1,1,0]
	v_pk_fma_f32 v[112:113], v[2:3], v[16:17], v[112:113] op_sel:[0,0,1] op_sel_hi:[1,1,0] neg_lo:[0,0,1] neg_hi:[0,0,1]
	v_mov_b32_e32 v101, v99
	s_waitcnt lgkmcnt(1)
	v_pk_mul_f32 v[2:3], v[8:9], v[4:5] op_sel:[0,1] op_sel_hi:[1,0]
	s_waitcnt lgkmcnt(0)
	v_pk_mul_f32 v[114:115], v[10:11], v[48:49] op_sel:[0,1] op_sel_hi:[1,0]
	v_mov_b32_e32 v2, v3
	v_mov_b32_e32 v16, v115
	v_pk_fma_f32 v[2:3], v[8:9], v[4:5], v[2:3] op_sel:[0,1,0] op_sel_hi:[1,0,1] neg_lo:[0,0,1] neg_hi:[0,0,1]
	v_pk_fma_f32 v[114:115], v[10:11], v[48:49], v[16:17] op_sel:[0,1,0] op_sel_hi:[1,0,1] neg_lo:[0,0,1] neg_hi:[0,0,1]
	v_pk_mul_f32 v[116:117], v[8:9], v[4:5]
	v_mov_b32_e32 v8, v9
	v_pk_mul_f32 v[118:119], v[10:11], v[48:49]
	v_mov_b32_e32 v10, v11
	v_pk_mul_f32 v[120:121], v[20:21], v[6:7] op_sel:[0,1] op_sel_hi:[1,0]
	v_pk_mul_f32 v[4:5], v[8:9], v[4:5] op_sel:[0,1] op_sel_hi:[1,0]
	v_mov_b32_e32 v8, v21
	v_mov_b32_e32 v16, v121
	v_pk_mul_f32 v[10:11], v[10:11], v[48:49] op_sel:[0,1] op_sel_hi:[1,0]
	v_pk_mul_f32 v[8:9], v[8:9], v[6:7] op_sel:[0,1] op_sel_hi:[1,0]
	v_pk_fma_f32 v[120:121], v[20:21], v[6:7], v[16:17] op_sel:[0,1,0] op_sel_hi:[1,0,1] neg_lo:[0,0,1] neg_hi:[0,0,1]
	v_pk_mul_f32 v[6:7], v[20:21], v[6:7]
	v_pk_mul_f32 v[20:21], v[22:23], v[50:51] op_sel:[0,1] op_sel_hi:[1,0]
	v_mov_b32_e32 v119, v90
	v_mov_b32_e32 v11, v108
	v_mov_b32_e32 v117, v94
	v_mov_b32_e32 v5, v100
	v_mov_b32_e32 v16, v21
	v_pk_add_f32 v[10:11], v[118:119], v[10:11]
	v_pk_add_f32 v[92:93], v[116:117], v[4:5]
	v_pk_fma_f32 v[20:21], v[22:23], v[50:51], v[16:17] op_sel:[0,1,0] op_sel_hi:[1,0,1] neg_lo:[0,0,1] neg_hi:[0,0,1]
	v_mov_b32_e32 v16, v23
	v_mov_b32_e32 v109, v87
	;; [unrolled: 1-line block ×4, first 2 shown]
	v_pk_mul_f32 v[122:123], v[22:23], v[50:51]
	v_pk_mul_f32 v[22:23], v[16:17], v[50:51] op_sel:[0,1] op_sel_hi:[1,0]
	v_pk_add_f32 v[48:49], v[90:91], v[108:109]
	v_pk_add_f32 v[50:51], v[90:91], v[108:109] neg_lo:[0,1] neg_hi:[0,1]
	v_pk_add_f32 v[90:91], v[94:95], v[100:101] neg_lo:[0,1] neg_hi:[0,1]
	;; [unrolled: 1-line block ×3, first 2 shown]
	v_pk_add_f32 v[86:87], v[94:95], v[100:101]
	v_mov_b32_e32 v94, v4
	v_mov_b32_e32 v95, v51
	;; [unrolled: 1-line block ×4, first 2 shown]
	v_pk_add_f32 v[94:95], v[94:95], v[96:97] neg_lo:[0,1] neg_hi:[0,1]
	v_mov_b32_e32 v96, v50
	v_mov_b32_e32 v98, v4
	;; [unrolled: 1-line block ×3, first 2 shown]
	v_pk_add_f32 v[96:97], v[96:97], v[98:99] neg_lo:[0,1] neg_hi:[0,1]
	v_mov_b32_e32 v3, v2
	v_mov_b32_e32 v2, v87
	;; [unrolled: 1-line block ×4, first 2 shown]
	v_pk_add_f32 v[98:99], v[2:3], v[98:99]
	v_pk_add_f32 v[2:3], v[4:5], v[90:91]
	v_mov_b32_e32 v4, v87
	v_pk_add_f32 v[100:101], v[2:3], v[50:51]
	v_pk_add_f32 v[2:3], v[92:93], v[10:11]
	v_mov_b32_e32 v5, v99
	v_mov_b32_e32 v10, v2
	v_pk_add_f32 v[108:109], v[10:11], v[4:5] neg_lo:[0,1] neg_hi:[0,1]
	v_mov_b32_e32 v92, v2
	v_pk_add_f32 v[114:115], v[98:99], v[2:3]
	ds_read2_b64 v[2:5], v52 offset1:56
	v_mov_b32_e32 v98, v49
	v_pk_mul_f32 v[94:95], v[94:95], s[16:17]
	v_pk_add_f32 v[98:99], v[98:99], v[92:93] neg_lo:[0,1] neg_hi:[0,1]
	v_pk_mul_f32 v[108:109], v[108:109], s[8:9]
	s_waitcnt lgkmcnt(0)
	v_pk_add_f32 v[2:3], v[2:3], v[114:115]
	v_pk_fma_f32 v[116:117], v[98:99], s[2:3], v[108:109]
	v_pk_fma_f32 v[114:115], v[114:115], s[6:7], v[2:3] op_sel_hi:[1,0,1] neg_lo:[1,0,0] neg_hi:[1,0,0]
	v_pk_fma_f32 v[118:119], v[96:97], s[14:15], v[94:95]
	v_pk_add_f32 v[116:117], v[116:117], v[114:115]
	v_pk_fma_f32 v[118:119], v[100:101], s[10:11], v[118:119] op_sel_hi:[1,0,1]
	s_nop 0
	v_pk_add_f32 v[124:125], v[116:117], v[118:119]
	v_pk_add_f32 v[116:117], v[116:117], v[118:119] neg_lo:[0,1] neg_hi:[0,1]
	v_mov_b32_e32 v118, v124
	v_mov_b32_e32 v119, v117
	; wave barrier
	ds_write2_b64 v130, v[2:3], v[118:119] offset1:16
	v_pk_add_f32 v[2:3], v[90:91], v[50:51] neg_lo:[0,1] neg_hi:[0,1]
	v_mov_b32_e32 v92, v87
	v_mov_b32_e32 v10, v49
	v_pk_mul_f32 v[48:49], v[96:97], s[14:15]
	v_pk_mul_f32 v[50:51], v[98:99], s[2:3]
	v_pk_add_f32 v[10:11], v[92:93], v[10:11] neg_lo:[0,1] neg_hi:[0,1]
	v_mov_b32_e32 v86, v50
	v_mov_b32_e32 v87, v109
	;; [unrolled: 1-line block ×6, first 2 shown]
	v_pk_fma_f32 v[86:87], v[10:11], s[12:13], v[86:87] op_sel_hi:[1,0,1] neg_lo:[1,0,1] neg_hi:[1,0,1]
	v_pk_fma_f32 v[90:91], v[2:3], s[18:19], v[90:91] op_sel_hi:[1,0,1] neg_lo:[1,0,1] neg_hi:[1,0,1]
	;; [unrolled: 1-line block ×4, first 2 shown]
	v_pk_add_f32 v[86:87], v[86:87], v[114:115]
	v_pk_fma_f32 v[90:91], v[100:101], s[10:11], v[90:91] op_sel_hi:[1,0,1]
	v_pk_add_f32 v[10:11], v[10:11], v[114:115]
	v_pk_fma_f32 v[2:3], v[100:101], s[10:11], v[2:3] op_sel_hi:[1,0,1]
	v_pk_add_f32 v[92:93], v[86:87], v[90:91]
	v_pk_add_f32 v[86:87], v[86:87], v[90:91] neg_lo:[0,1] neg_hi:[0,1]
	v_pk_add_f32 v[48:49], v[10:11], v[2:3] neg_lo:[0,1] neg_hi:[0,1]
	v_pk_add_f32 v[2:3], v[10:11], v[2:3]
	v_mov_b32_e32 v10, v92
	v_mov_b32_e32 v11, v87
	;; [unrolled: 1-line block ×13, first 2 shown]
	ds_write2_b64 v130, v[10:11], v[50:51] offset0:32 offset1:48
	ds_write2_b64 v130, v[2:3], v[86:87] offset0:64 offset1:80
	v_pk_add_f32 v[2:3], v[12:13], v[112:113]
	v_pk_add_f32 v[10:11], v[12:13], v[112:113] neg_lo:[0,1] neg_hi:[0,1]
	v_pk_add_f32 v[12:13], v[122:123], v[22:23]
	v_pk_add_f32 v[16:17], v[14:15], v[0:1]
	v_pk_add_f32 v[14:15], v[14:15], v[0:1] neg_lo:[0,1] neg_hi:[0,1]
	v_pk_add_f32 v[0:1], v[6:7], v[8:9]
	v_mov_b32_e32 v21, v12
	v_mov_b32_e32 v121, v0
	v_pk_add_f32 v[6:7], v[20:21], v[120:121] neg_lo:[0,1] neg_hi:[0,1]
	v_mov_b32_e32 v9, v11
	v_mov_b32_e32 v8, v6
	;; [unrolled: 1-line block ×4, first 2 shown]
	v_pk_add_f32 v[8:9], v[8:9], v[18:19] neg_lo:[0,1] neg_hi:[0,1]
	v_mov_b32_e32 v18, v10
	v_mov_b32_e32 v22, v6
	;; [unrolled: 1-line block ×3, first 2 shown]
	v_pk_add_f32 v[18:19], v[18:19], v[22:23] neg_lo:[0,1] neg_hi:[0,1]
	v_mov_b32_e32 v23, v120
	v_mov_b32_e32 v22, v17
	;; [unrolled: 1-line block ×4, first 2 shown]
	v_pk_add_f32 v[20:21], v[22:23], v[20:21]
	v_pk_add_f32 v[22:23], v[0:1], v[12:13]
	v_mov_b32_e32 v48, v17
	v_mov_b32_e32 v12, v22
	;; [unrolled: 1-line block ×4, first 2 shown]
	v_pk_add_f32 v[22:23], v[20:21], v[22:23]
	v_pk_add_f32 v[48:49], v[12:13], v[48:49] neg_lo:[0,1] neg_hi:[0,1]
	v_mov_b32_e32 v20, v3
	v_pk_add_f32 v[4:5], v[4:5], v[22:23]
	v_pk_mul_f32 v[8:9], v[8:9], s[16:17]
	v_pk_add_f32 v[6:7], v[6:7], v[14:15]
	v_pk_add_f32 v[20:21], v[20:21], v[0:1] neg_lo:[0,1] neg_hi:[0,1]
	v_pk_mul_f32 v[48:49], v[48:49], s[8:9]
	v_pk_add_f32 v[6:7], v[6:7], v[10:11]
	v_pk_fma_f32 v[22:23], v[22:23], s[6:7], v[4:5] op_sel_hi:[1,0,1] neg_lo:[1,0,0] neg_hi:[1,0,0]
	v_pk_fma_f32 v[50:51], v[20:21], s[2:3], v[48:49]
	v_pk_fma_f32 v[86:87], v[18:19], s[14:15], v[8:9]
	v_pk_add_f32 v[50:51], v[50:51], v[22:23]
	v_pk_fma_f32 v[86:87], v[6:7], s[10:11], v[86:87] op_sel_hi:[1,0,1]
	v_mov_b32_e32 v117, v125
	v_pk_add_f32 v[88:89], v[50:51], v[86:87]
	v_pk_add_f32 v[50:51], v[50:51], v[86:87] neg_lo:[0,1] neg_hi:[0,1]
	v_mov_b32_e32 v86, v88
	v_mov_b32_e32 v87, v51
	ds_write_b64 v130, v[116:117] offset:768
	ds_write2_b64 v131, v[4:5], v[86:87] offset1:16
	v_pk_add_f32 v[4:5], v[14:15], v[10:11] neg_lo:[0,1] neg_hi:[0,1]
	v_mov_b32_e32 v0, v17
	v_mov_b32_e32 v12, v3
	v_pk_mul_f32 v[2:3], v[18:19], s[14:15]
	v_pk_mul_f32 v[10:11], v[20:21], s[2:3]
	v_pk_add_f32 v[0:1], v[0:1], v[12:13] neg_lo:[0,1] neg_hi:[0,1]
	v_mov_b32_e32 v12, v10
	v_mov_b32_e32 v13, v49
	;; [unrolled: 1-line block ×6, first 2 shown]
	v_pk_fma_f32 v[12:13], v[0:1], s[12:13], v[12:13] op_sel_hi:[1,0,1] neg_lo:[1,0,1] neg_hi:[1,0,1]
	v_pk_fma_f32 v[14:15], v[4:5], s[18:19], v[14:15] op_sel_hi:[1,0,1] neg_lo:[1,0,1] neg_hi:[1,0,1]
	;; [unrolled: 1-line block ×4, first 2 shown]
	v_pk_add_f32 v[12:13], v[12:13], v[22:23]
	v_pk_fma_f32 v[14:15], v[6:7], s[10:11], v[14:15] op_sel_hi:[1,0,1]
	v_pk_add_f32 v[0:1], v[0:1], v[22:23]
	v_pk_fma_f32 v[2:3], v[6:7], s[10:11], v[2:3] op_sel_hi:[1,0,1]
	v_pk_add_f32 v[16:17], v[12:13], v[14:15]
	v_pk_add_f32 v[12:13], v[12:13], v[14:15] neg_lo:[0,1] neg_hi:[0,1]
	v_pk_add_f32 v[4:5], v[0:1], v[2:3] neg_lo:[0,1] neg_hi:[0,1]
	v_pk_add_f32 v[0:1], v[0:1], v[2:3]
	v_mov_b32_e32 v2, v16
	v_mov_b32_e32 v3, v13
	;; [unrolled: 1-line block ×7, first 2 shown]
	ds_write2_b64 v131, v[2:3], v[6:7] offset0:32 offset1:48
	ds_write2_b64 v131, v[0:1], v[12:13] offset0:64 offset1:80
	ds_write_b64 v131, v[50:51] offset:768
	s_waitcnt lgkmcnt(0)
	; wave barrier
	s_waitcnt lgkmcnt(0)
	ds_read2_b64 v[0:3], v52 offset0:112 offset1:168
	ds_read2_b64 v[4:7], v106 offset0:96 offset1:152
	s_waitcnt lgkmcnt(1)
	v_mov_b32_e32 v8, v1
	v_pk_mul_f32 v[10:11], v[44:45], v[0:1] op_sel_hi:[1,0]
	s_waitcnt lgkmcnt(0)
	v_pk_mul_f32 v[12:13], v[46:47], v[4:5] op_sel_hi:[1,0]
	v_pk_fma_f32 v[8:9], v[44:45], v[8:9], v[10:11] op_sel:[0,0,1] op_sel_hi:[1,1,0] neg_lo:[0,0,1] neg_hi:[0,0,1]
	v_pk_fma_f32 v[10:11], v[44:45], v[0:1], v[10:11] op_sel:[0,1,1] op_sel_hi:[1,1,0]
	v_mov_b32_e32 v0, v5
	v_pk_fma_f32 v[14:15], v[46:47], v[0:1], v[12:13] op_sel:[0,0,1] op_sel_hi:[1,1,0] neg_lo:[0,0,1] neg_hi:[0,0,1]
	v_pk_fma_f32 v[12:13], v[46:47], v[4:5], v[12:13] op_sel:[0,1,1] op_sel_hi:[1,1,0]
	v_mov_b32_e32 v0, v3
	v_pk_mul_f32 v[4:5], v[40:41], v[2:3] op_sel_hi:[1,0]
	v_pk_mul_f32 v[20:21], v[42:43], v[6:7] op_sel_hi:[1,0]
	v_pk_fma_f32 v[16:17], v[40:41], v[2:3], v[4:5] op_sel:[0,1,1] op_sel_hi:[1,1,0]
	v_pk_fma_f32 v[18:19], v[40:41], v[0:1], v[4:5] op_sel:[0,0,1] op_sel_hi:[1,1,0] neg_lo:[0,0,1] neg_hi:[0,0,1]
	v_mov_b32_e32 v4, v7
	ds_read2_b64 v[0:3], v53 offset0:48 offset1:104
	v_pk_fma_f32 v[22:23], v[42:43], v[6:7], v[20:21] op_sel:[0,1,1] op_sel_hi:[1,1,0]
	v_pk_fma_f32 v[20:21], v[42:43], v[4:5], v[20:21] op_sel:[0,0,1] op_sel_hi:[1,1,0] neg_lo:[0,0,1] neg_hi:[0,0,1]
	ds_read2_b64 v[4:7], v53 offset0:160 offset1:216
	v_mov_b32_e32 v12, v39
	s_waitcnt lgkmcnt(1)
	v_mov_b32_e32 v10, v1
	v_pk_mul_f32 v[40:41], v[24:25], v[0:1] op_sel_hi:[1,0]
	v_mov_b32_e32 v19, v17
	v_pk_fma_f32 v[42:43], v[24:25], v[10:11], v[40:41] op_sel:[0,0,1] op_sel_hi:[1,1,0] neg_lo:[0,0,1] neg_hi:[0,0,1]
	v_pk_fma_f32 v[24:25], v[24:25], v[0:1], v[40:41] op_sel:[0,1,1] op_sel_hi:[1,1,0]
	s_waitcnt lgkmcnt(0)
	v_mov_b32_e32 v0, v5
	v_pk_mul_f32 v[40:41], v[26:27], v[4:5] op_sel_hi:[1,0]
	v_pk_mul_f32 v[46:47], v[30:31], v[6:7] op_sel_hi:[1,0]
	v_pk_fma_f32 v[44:45], v[26:27], v[0:1], v[40:41] op_sel:[0,0,1] op_sel_hi:[1,1,0] neg_lo:[0,0,1] neg_hi:[0,0,1]
	v_pk_fma_f32 v[26:27], v[26:27], v[4:5], v[40:41] op_sel:[0,1,1] op_sel_hi:[1,1,0]
	v_mov_b32_e32 v0, v3
	v_pk_mul_f32 v[4:5], v[28:29], v[2:3] op_sel_hi:[1,0]
	v_mov_b32_e32 v10, v7
	v_pk_fma_f32 v[40:41], v[28:29], v[2:3], v[4:5] op_sel:[0,1,1] op_sel_hi:[1,1,0]
	v_pk_fma_f32 v[28:29], v[28:29], v[0:1], v[4:5] op_sel:[0,0,1] op_sel_hi:[1,1,0] neg_lo:[0,0,1] neg_hi:[0,0,1]
	ds_read2_b64 v[0:3], v107 offset0:80 offset1:136
	v_pk_fma_f32 v[48:49], v[30:31], v[6:7], v[46:47] op_sel:[0,1,1] op_sel_hi:[1,1,0]
	ds_read2_b64 v[4:7], v107 offset0:192 offset1:248
	v_pk_fma_f32 v[30:31], v[30:31], v[10:11], v[46:47] op_sel:[0,0,1] op_sel_hi:[1,1,0] neg_lo:[0,0,1] neg_hi:[0,0,1]
	v_mov_b32_e32 v9, v11
	s_waitcnt lgkmcnt(1)
	v_pk_mul_f32 v[46:47], v[36:37], v[0:1] op_sel:[0,1] op_sel_hi:[1,0]
	v_pk_mul_f32 v[86:87], v[36:37], v[0:1]
	v_mov_b32_e32 v10, v47
	s_waitcnt lgkmcnt(0)
	v_pk_mul_f32 v[50:51], v[38:39], v[4:5] op_sel:[0,1] op_sel_hi:[1,0]
	v_pk_fma_f32 v[46:47], v[36:37], v[0:1], v[10:11] op_sel:[0,1,0] op_sel_hi:[1,0,1] neg_lo:[0,0,1] neg_hi:[0,0,1]
	v_mov_b32_e32 v10, v51
	v_pk_fma_f32 v[50:51], v[38:39], v[4:5], v[10:11] op_sel:[0,1,0] op_sel_hi:[1,0,1] neg_lo:[0,0,1] neg_hi:[0,0,1]
	v_mov_b32_e32 v10, v37
	v_pk_mul_f32 v[0:1], v[10:11], v[0:1] op_sel:[0,1] op_sel_hi:[1,0]
	v_mov_b32_e32 v10, v33
	v_pk_mul_f32 v[88:89], v[32:33], v[2:3] op_sel:[0,1] op_sel_hi:[1,0]
	v_pk_mul_f32 v[36:37], v[38:39], v[4:5]
	v_pk_mul_f32 v[38:39], v[10:11], v[2:3] op_sel:[0,1] op_sel_hi:[1,0]
	v_mov_b32_e32 v10, v89
	v_pk_mul_f32 v[4:5], v[12:13], v[4:5] op_sel:[0,1] op_sel_hi:[1,0]
	v_pk_fma_f32 v[88:89], v[32:33], v[2:3], v[10:11] op_sel:[0,1,0] op_sel_hi:[1,0,1] neg_lo:[0,0,1] neg_hi:[0,0,1]
	v_pk_mul_f32 v[2:3], v[32:33], v[2:3]
	v_pk_mul_f32 v[32:33], v[34:35], v[6:7] op_sel:[0,1] op_sel_hi:[1,0]
	v_mov_b32_e32 v37, v8
	v_mov_b32_e32 v5, v44
	;; [unrolled: 1-line block ×5, first 2 shown]
	v_pk_add_f32 v[4:5], v[36:37], v[4:5]
	v_pk_add_f32 v[16:17], v[86:87], v[0:1]
	v_pk_fma_f32 v[32:33], v[34:35], v[6:7], v[10:11] op_sel:[0,1,0] op_sel_hi:[1,0,1] neg_lo:[0,0,1] neg_hi:[0,0,1]
	v_mov_b32_e32 v10, v35
	v_mov_b32_e32 v15, v13
	;; [unrolled: 1-line block ×6, first 2 shown]
	v_pk_mul_f32 v[90:91], v[34:35], v[6:7]
	v_pk_mul_f32 v[6:7], v[10:11], v[6:7] op_sel:[0,1] op_sel_hi:[1,0]
	v_pk_add_f32 v[10:11], v[8:9], v[44:45]
	v_pk_add_f32 v[8:9], v[8:9], v[44:45] neg_lo:[0,1] neg_hi:[0,1]
	v_pk_add_f32 v[12:13], v[14:15], v[42:43]
	v_pk_add_f32 v[14:15], v[14:15], v[42:43] neg_lo:[0,1] neg_hi:[0,1]
	v_pk_add_f32 v[0:1], v[50:51], v[46:47] neg_lo:[0,1] neg_hi:[0,1]
	v_mov_b32_e32 v21, v23
	v_mov_b32_e32 v22, v0
	;; [unrolled: 1-line block ×7, first 2 shown]
	v_pk_add_f32 v[22:23], v[22:23], v[24:25] neg_lo:[0,1] neg_hi:[0,1]
	v_mov_b32_e32 v24, v8
	v_mov_b32_e32 v26, v0
	;; [unrolled: 1-line block ×7, first 2 shown]
	v_pk_add_f32 v[24:25], v[24:25], v[26:27] neg_lo:[0,1] neg_hi:[0,1]
	v_pk_add_f32 v[26:27], v[18:19], v[30:31]
	v_pk_add_f32 v[18:19], v[18:19], v[30:31] neg_lo:[0,1] neg_hi:[0,1]
	v_pk_add_f32 v[6:7], v[90:91], v[6:7]
	v_pk_add_f32 v[30:31], v[20:21], v[28:29]
	v_pk_add_f32 v[20:21], v[20:21], v[28:29] neg_lo:[0,1] neg_hi:[0,1]
	v_pk_add_f32 v[28:29], v[2:3], v[38:39]
	v_mov_b32_e32 v33, v6
	v_mov_b32_e32 v89, v28
	v_pk_add_f32 v[34:35], v[32:33], v[88:89] neg_lo:[0,1] neg_hi:[0,1]
	v_mov_b32_e32 v3, v19
	v_mov_b32_e32 v2, v34
	v_mov_b32_e32 v36, v20
	v_mov_b32_e32 v37, v35
	v_pk_add_f32 v[36:37], v[2:3], v[36:37] neg_lo:[0,1] neg_hi:[0,1]
	v_mov_b32_e32 v2, v18
	v_mov_b32_e32 v3, v35
	;; [unrolled: 5-line block ×3, first 2 shown]
	v_mov_b32_e32 v41, v50
	v_mov_b32_e32 v40, v11
	v_pk_add_f32 v[0:1], v[0:1], v[14:15]
	v_pk_add_f32 v[40:41], v[2:3], v[40:41]
	;; [unrolled: 1-line block ×4, first 2 shown]
	v_mov_b32_e32 v3, v41
	v_mov_b32_e32 v4, v0
	v_pk_add_f32 v[44:45], v[4:5], v[2:3] neg_lo:[0,1] neg_hi:[0,1]
	v_mov_b32_e32 v16, v0
	v_pk_add_f32 v[46:47], v[40:41], v[0:1]
	ds_read2_b64 v[0:3], v52 offset1:56
	v_mov_b32_e32 v40, v11
	v_pk_mul_f32 v[22:23], v[22:23], s[16:17]
	v_pk_add_f32 v[40:41], v[40:41], v[16:17] neg_lo:[0,1] neg_hi:[0,1]
	v_pk_mul_f32 v[44:45], v[44:45], s[8:9]
	s_waitcnt lgkmcnt(0)
	v_pk_add_f32 v[0:1], v[0:1], v[46:47]
	v_pk_fma_f32 v[48:49], v[40:41], s[2:3], v[44:45]
	v_pk_fma_f32 v[46:47], v[46:47], s[6:7], v[0:1] op_sel_hi:[1,0,1] neg_lo:[1,0,0] neg_hi:[1,0,0]
	v_pk_fma_f32 v[50:51], v[24:25], s[14:15], v[22:23]
	v_pk_add_f32 v[48:49], v[48:49], v[46:47]
	v_pk_fma_f32 v[50:51], v[42:43], s[10:11], v[50:51] op_sel_hi:[1,0,1]
	v_mov_b32_e32 v16, v13
	v_pk_add_f32 v[86:87], v[48:49], v[50:51]
	v_pk_add_f32 v[48:49], v[48:49], v[50:51] neg_lo:[0,1] neg_hi:[0,1]
	v_mov_b32_e32 v4, v11
	v_pk_mul_f32 v[10:11], v[24:25], s[14:15]
	v_pk_mul_f32 v[12:13], v[40:41], s[2:3]
	v_mov_b32_e32 v50, v48
	v_mov_b32_e32 v51, v87
	v_pk_add_f32 v[8:9], v[14:15], v[8:9] neg_lo:[0,1] neg_hi:[0,1]
	v_pk_add_f32 v[4:5], v[16:17], v[4:5] neg_lo:[0,1] neg_hi:[0,1]
	v_mov_b32_e32 v14, v12
	v_mov_b32_e32 v15, v45
	v_mov_b32_e32 v16, v10
	v_mov_b32_e32 v17, v23
	v_mov_b32_e32 v45, v13
	v_mov_b32_e32 v23, v11
	ds_write_b64 v52, v[50:51] offset:5376
	v_mov_b32_e32 v51, v88
	v_mov_b32_e32 v50, v31
	;; [unrolled: 1-line block ×4, first 2 shown]
	v_pk_fma_f32 v[14:15], v[4:5], s[12:13], v[14:15] op_sel_hi:[1,0,1] neg_lo:[1,0,1] neg_hi:[1,0,1]
	v_pk_fma_f32 v[16:17], v[8:9], s[18:19], v[16:17] op_sel_hi:[1,0,1] neg_lo:[1,0,1] neg_hi:[1,0,1]
	;; [unrolled: 1-line block ×4, first 2 shown]
	v_pk_add_f32 v[32:33], v[50:51], v[32:33]
	v_pk_add_f32 v[50:51], v[28:29], v[6:7]
	;; [unrolled: 1-line block ×3, first 2 shown]
	v_pk_fma_f32 v[16:17], v[42:43], s[10:11], v[16:17] op_sel_hi:[1,0,1]
	v_pk_add_f32 v[4:5], v[4:5], v[46:47]
	v_pk_fma_f32 v[8:9], v[42:43], s[10:11], v[8:9] op_sel_hi:[1,0,1]
	v_mov_b32_e32 v6, v50
	v_mov_b32_e32 v28, v50
	v_pk_add_f32 v[50:51], v[32:33], v[50:51]
	v_pk_add_f32 v[24:25], v[14:15], v[16:17]
	v_pk_add_f32 v[14:15], v[14:15], v[16:17] neg_lo:[0,1] neg_hi:[0,1]
	v_pk_add_f32 v[10:11], v[4:5], v[8:9] neg_lo:[0,1] neg_hi:[0,1]
	v_pk_add_f32 v[4:5], v[4:5], v[8:9]
	v_pk_add_f32 v[2:3], v[2:3], v[50:51]
	v_mov_b32_e32 v87, v49
	v_mov_b32_e32 v16, v14
	;; [unrolled: 1-line block ×7, first 2 shown]
	ds_write_b64 v52, v[86:87] offset:896
	ds_write_b64 v52, v[16:17] offset:4480
	;; [unrolled: 1-line block ×5, first 2 shown]
	ds_write2_b64 v52, v[0:1], v[2:3] offset1:56
	v_mov_b32_e32 v0, v31
	v_mov_b32_e32 v1, v33
	v_pk_add_f32 v[0:1], v[6:7], v[0:1] neg_lo:[0,1] neg_hi:[0,1]
	v_mov_b32_e32 v32, v27
	v_pk_mul_f32 v[4:5], v[36:37], s[16:17]
	v_pk_add_f32 v[8:9], v[34:35], v[20:21]
	v_pk_add_f32 v[10:11], v[32:33], v[28:29] neg_lo:[0,1] neg_hi:[0,1]
	v_pk_mul_f32 v[0:1], v[0:1], s[8:9]
	v_pk_add_f32 v[8:9], v[8:9], v[18:19]
	v_pk_fma_f32 v[2:3], v[50:51], s[6:7], v[2:3] op_sel_hi:[1,0,1] neg_lo:[1,0,0] neg_hi:[1,0,0]
	v_pk_fma_f32 v[12:13], v[10:11], s[2:3], v[0:1]
	v_pk_fma_f32 v[14:15], v[38:39], s[14:15], v[4:5]
	v_pk_add_f32 v[12:13], v[12:13], v[2:3]
	v_pk_fma_f32 v[14:15], v[8:9], s[10:11], v[14:15] op_sel_hi:[1,0,1]
	v_pk_mul_f32 v[10:11], v[10:11], s[2:3]
	v_pk_add_f32 v[16:17], v[12:13], v[14:15]
	v_pk_add_f32 v[12:13], v[12:13], v[14:15] neg_lo:[0,1] neg_hi:[0,1]
	v_mov_b32_e32 v14, v16
	v_mov_b32_e32 v15, v13
	ds_write_b64 v52, v[14:15] offset:1344
	v_pk_add_f32 v[14:15], v[20:21], v[18:19] neg_lo:[0,1] neg_hi:[0,1]
	v_pk_mul_f32 v[18:19], v[38:39], s[14:15]
	v_mov_b32_e32 v28, v31
	v_mov_b32_e32 v6, v27
	v_pk_add_f32 v[6:7], v[28:29], v[6:7] neg_lo:[0,1] neg_hi:[0,1]
	v_mov_b32_e32 v20, v10
	v_mov_b32_e32 v21, v1
	;; [unrolled: 1-line block ×6, first 2 shown]
	v_pk_fma_f32 v[20:21], v[6:7], s[12:13], v[20:21] op_sel_hi:[1,0,1] neg_lo:[1,0,1] neg_hi:[1,0,1]
	v_pk_fma_f32 v[22:23], v[14:15], s[18:19], v[22:23] op_sel_hi:[1,0,1] neg_lo:[1,0,1] neg_hi:[1,0,1]
	;; [unrolled: 1-line block ×4, first 2 shown]
	v_pk_add_f32 v[20:21], v[20:21], v[2:3]
	v_pk_fma_f32 v[22:23], v[8:9], s[10:11], v[22:23] op_sel_hi:[1,0,1]
	v_pk_add_f32 v[0:1], v[0:1], v[2:3]
	v_pk_fma_f32 v[2:3], v[8:9], s[10:11], v[4:5] op_sel_hi:[1,0,1]
	v_pk_add_f32 v[24:25], v[20:21], v[22:23]
	v_pk_add_f32 v[20:21], v[20:21], v[22:23] neg_lo:[0,1] neg_hi:[0,1]
	v_pk_add_f32 v[4:5], v[0:1], v[2:3] neg_lo:[0,1] neg_hi:[0,1]
	v_pk_add_f32 v[0:1], v[0:1], v[2:3]
	v_mov_b32_e32 v22, v24
	v_mov_b32_e32 v23, v21
	;; [unrolled: 1-line block ×7, first 2 shown]
	ds_write_b64 v52, v[22:23] offset:2240
	ds_write_b64 v52, v[2:3] offset:3136
	;; [unrolled: 1-line block ×5, first 2 shown]
	s_waitcnt lgkmcnt(0)
	; wave barrier
	s_waitcnt lgkmcnt(0)
	ds_read2_b64 v[0:3], v52 offset1:56
	v_mov_b32_e32 v8, s0
	v_mov_b32_e32 v9, s1
	s_mov_b32 s0, 0xa72f0539
	s_mov_b32 s1, 0x3f54e5e0
	s_waitcnt lgkmcnt(0)
	v_mul_f32_e32 v4, v73, v1
	v_fmac_f32_e32 v4, v72, v0
	v_mul_f32_e32 v0, v73, v0
	v_fma_f32 v0, v72, v1, -v0
	v_cvt_f64_f32_e32 v[0:1], v0
	v_cvt_f64_f32_e32 v[4:5], v4
	v_mul_f64 v[0:1], v[0:1], s[0:1]
	v_mul_f64 v[4:5], v[4:5], s[0:1]
	v_cvt_f32_f64_e32 v11, v[0:1]
	v_mad_u64_u32 v[0:1], s[2:3], s4, v104, 0
	v_cvt_f32_f64_e32 v10, v[4:5]
	v_mov_b32_e32 v4, v1
	v_mad_u64_u32 v[12:13], s[2:3], s5, v104, v[4:5]
	ds_read2_b64 v[4:7], v107 offset0:80 offset1:136
	v_mov_b32_e32 v1, v12
	v_lshl_add_u64 v[12:13], v[56:57], 3, v[8:9]
	v_lshl_add_u64 v[0:1], v[0:1], 3, v[12:13]
	global_store_dwordx2 v[0:1], v[10:11], off
	s_waitcnt lgkmcnt(0)
	v_mul_f32_e32 v8, v63, v7
	v_fmac_f32_e32 v8, v62, v6
	v_mul_f32_e32 v6, v63, v6
	v_fma_f32 v6, v62, v7, -v6
	v_cvt_f64_f32_e32 v[8:9], v8
	v_cvt_f64_f32_e32 v[6:7], v6
	v_mul_f64 v[8:9], v[8:9], s[0:1]
	v_mul_f64 v[6:7], v[6:7], s[0:1]
	v_cvt_f32_f64_e32 v8, v[8:9]
	v_cvt_f32_f64_e32 v9, v[6:7]
	v_mul_f32_e32 v6, v85, v3
	v_fmac_f32_e32 v6, v84, v2
	v_mul_f32_e32 v2, v85, v2
	v_mad_u64_u32 v[0:1], s[2:3], s4, v67, v[0:1]
	v_fma_f32 v2, v84, v3, -v2
	s_mul_i32 s2, s5, 0xc40
	v_cvt_f64_f32_e32 v[6:7], v6
	v_cvt_f64_f32_e32 v[2:3], v2
	v_add_u32_e32 v1, s2, v1
	v_mul_f64 v[6:7], v[6:7], s[0:1]
	v_mul_f64 v[2:3], v[2:3], s[0:1]
	global_store_dwordx2 v[0:1], v[8:9], off
	v_cvt_f32_f64_e32 v6, v[6:7]
	v_cvt_f32_f64_e32 v7, v[2:3]
	v_mad_u64_u32 v[10:11], s[6:7], s4, v102, v[0:1]
	ds_read2_b64 v[0:3], v107 offset0:192 offset1:248
	s_mul_i32 s3, s5, 0xfffff580
	s_sub_i32 s3, s3, s4
	v_add_u32_e32 v11, s3, v11
	global_store_dwordx2 v[10:11], v[6:7], off
	s_waitcnt lgkmcnt(0)
	v_mul_f32_e32 v6, v81, v1
	v_fmac_f32_e32 v6, v80, v0
	v_mul_f32_e32 v0, v81, v0
	v_fma_f32 v0, v80, v1, -v0
	v_cvt_f64_f32_e32 v[6:7], v6
	v_cvt_f64_f32_e32 v[0:1], v0
	v_mul_f64 v[6:7], v[6:7], s[0:1]
	v_mul_f64 v[0:1], v[0:1], s[0:1]
	v_cvt_f32_f64_e32 v14, v[6:7]
	v_cvt_f32_f64_e32 v15, v[0:1]
	v_mad_u64_u32 v[0:1], s[6:7], s4, v105, 0
	ds_read2_b64 v[6:9], v52 offset0:112 offset1:168
	v_mov_b32_e32 v16, v1
	v_mad_u64_u32 v[16:17], s[6:7], s5, v105, v[16:17]
	v_mov_b32_e32 v1, v16
	v_lshl_add_u64 v[0:1], v[0:1], 3, v[12:13]
	global_store_dwordx2 v[0:1], v[14:15], off
	s_waitcnt lgkmcnt(0)
	v_mul_f32_e32 v0, v75, v7
	v_fmac_f32_e32 v0, v74, v6
	v_cvt_f64_f32_e32 v[0:1], v0
	v_mul_f64 v[0:1], v[0:1], s[0:1]
	v_cvt_f32_f64_e32 v0, v[0:1]
	v_mul_f32_e32 v1, v75, v6
	v_fma_f32 v1, v74, v7, -v1
	v_cvt_f64_f32_e32 v[6:7], v1
	v_mul_f64 v[6:7], v[6:7], s[0:1]
	v_cvt_f32_f64_e32 v1, v[6:7]
	v_mad_u64_u32 v[6:7], s[6:7], s4, v103, v[10:11]
	s_mulk_i32 s5, 0x1c0
	v_add_u32_e32 v7, s5, v7
	global_store_dwordx2 v[6:7], v[0:1], off
	v_mul_f32_e32 v0, v69, v3
	v_fmac_f32_e32 v0, v68, v2
	v_cvt_f64_f32_e32 v[0:1], v0
	v_mul_f64 v[0:1], v[0:1], s[0:1]
	v_cvt_f32_f64_e32 v0, v[0:1]
	v_mul_f32_e32 v1, v69, v2
	v_fma_f32 v1, v68, v3, -v1
	v_cvt_f64_f32_e32 v[2:3], v1
	v_mul_f64 v[2:3], v[2:3], s[0:1]
	v_mad_u64_u32 v[6:7], s[6:7], s4, v67, v[6:7]
	v_cvt_f32_f64_e32 v1, v[2:3]
	v_add_u32_e32 v7, s2, v7
	global_store_dwordx2 v[6:7], v[0:1], off
	v_mul_f32_e32 v0, v59, v9
	v_fmac_f32_e32 v0, v58, v8
	v_cvt_f64_f32_e32 v[0:1], v0
	v_mul_f64 v[0:1], v[0:1], s[0:1]
	v_cvt_f32_f64_e32 v10, v[0:1]
	v_mul_f32_e32 v0, v59, v8
	v_fma_f32 v0, v58, v9, -v0
	v_cvt_f64_f32_e32 v[0:1], v0
	v_mul_f64 v[0:1], v[0:1], s[0:1]
	v_cvt_f32_f64_e32 v11, v[0:1]
	ds_read2_b64 v[0:3], v53 offset0:48 offset1:104
	v_mad_u64_u32 v[12:13], s[6:7], s4, v102, v[6:7]
	v_add_u32_e32 v13, s3, v13
	global_store_dwordx2 v[12:13], v[10:11], off
	s_waitcnt lgkmcnt(0)
	v_mul_f32_e32 v6, v83, v1
	v_fmac_f32_e32 v6, v82, v0
	v_cvt_f64_f32_e32 v[6:7], v6
	v_mul_f64 v[6:7], v[6:7], s[0:1]
	v_mul_f32_e32 v0, v83, v0
	v_cvt_f32_f64_e32 v10, v[6:7]
	v_fma_f32 v0, v82, v1, -v0
	ds_read2_b64 v[6:9], v106 offset0:96 offset1:152
	v_cvt_f64_f32_e32 v[0:1], v0
	v_mul_f64 v[0:1], v[0:1], s[0:1]
	v_cvt_f32_f64_e32 v11, v[0:1]
	v_mad_u64_u32 v[0:1], s[6:7], s4, v67, v[12:13]
	v_add_u32_e32 v1, s2, v1
	global_store_dwordx2 v[0:1], v[10:11], off
	s_waitcnt lgkmcnt(0)
	v_mul_f32_e32 v10, v55, v7
	v_fmac_f32_e32 v10, v54, v6
	v_mul_f32_e32 v6, v55, v6
	v_fma_f32 v6, v54, v7, -v6
	v_cvt_f64_f32_e32 v[10:11], v10
	v_cvt_f64_f32_e32 v[6:7], v6
	v_mul_f64 v[10:11], v[10:11], s[0:1]
	v_mul_f64 v[6:7], v[6:7], s[0:1]
	v_cvt_f32_f64_e32 v10, v[10:11]
	v_cvt_f32_f64_e32 v11, v[6:7]
	v_mad_u64_u32 v[0:1], s[6:7], s4, v102, v[0:1]
	v_mul_f32_e32 v6, v79, v3
	v_add_u32_e32 v1, s3, v1
	v_fmac_f32_e32 v6, v78, v2
	v_mul_f32_e32 v2, v79, v2
	global_store_dwordx2 v[0:1], v[10:11], off
	v_fma_f32 v2, v78, v3, -v2
	v_mad_u64_u32 v[10:11], s[6:7], s4, v67, v[0:1]
	v_mul_f32_e32 v0, v77, v9
	v_cvt_f64_f32_e32 v[6:7], v6
	v_cvt_f64_f32_e32 v[2:3], v2
	v_fmac_f32_e32 v0, v76, v8
	v_mul_f64 v[6:7], v[6:7], s[0:1]
	v_mul_f64 v[2:3], v[2:3], s[0:1]
	v_cvt_f64_f32_e32 v[0:1], v0
	v_cvt_f32_f64_e32 v6, v[6:7]
	v_cvt_f32_f64_e32 v7, v[2:3]
	v_add_u32_e32 v11, s2, v11
	v_mul_f64 v[0:1], v[0:1], s[0:1]
	global_store_dwordx2 v[10:11], v[6:7], off
	v_cvt_f32_f64_e32 v6, v[0:1]
	v_mul_f32_e32 v0, v77, v8
	v_fma_f32 v0, v76, v9, -v0
	v_cvt_f64_f32_e32 v[0:1], v0
	v_mul_f64 v[0:1], v[0:1], s[0:1]
	v_cvt_f32_f64_e32 v7, v[0:1]
	ds_read2_b64 v[0:3], v53 offset0:160 offset1:216
	v_mad_u64_u32 v[8:9], s[6:7], s4, v102, v[10:11]
	v_add_u32_e32 v9, s3, v9
	global_store_dwordx2 v[8:9], v[6:7], off
	s_waitcnt lgkmcnt(0)
	v_mul_f32_e32 v6, v71, v1
	v_fmac_f32_e32 v6, v70, v0
	v_mul_f32_e32 v0, v71, v0
	v_fma_f32 v0, v70, v1, -v0
	v_cvt_f64_f32_e32 v[6:7], v6
	v_cvt_f64_f32_e32 v[0:1], v0
	v_mul_f64 v[6:7], v[6:7], s[0:1]
	v_mul_f64 v[0:1], v[0:1], s[0:1]
	v_cvt_f32_f64_e32 v6, v[6:7]
	v_cvt_f32_f64_e32 v7, v[0:1]
	v_mad_u64_u32 v[0:1], s[6:7], s4, v67, v[8:9]
	v_add_u32_e32 v1, s2, v1
	global_store_dwordx2 v[0:1], v[6:7], off
	v_mul_f32_e32 v6, v61, v5
	v_fmac_f32_e32 v6, v60, v4
	v_mul_f32_e32 v4, v61, v4
	v_fma_f32 v4, v60, v5, -v4
	v_cvt_f64_f32_e32 v[6:7], v6
	v_cvt_f64_f32_e32 v[4:5], v4
	v_mul_f64 v[6:7], v[6:7], s[0:1]
	v_mul_f64 v[4:5], v[4:5], s[0:1]
	v_cvt_f32_f64_e32 v6, v[6:7]
	v_cvt_f32_f64_e32 v7, v[4:5]
	v_mul_f32_e32 v4, v65, v3
	v_fmac_f32_e32 v4, v64, v2
	v_mul_f32_e32 v2, v65, v2
	v_mad_u64_u32 v[0:1], s[6:7], s4, v102, v[0:1]
	v_fma_f32 v2, v64, v3, -v2
	v_add_u32_e32 v1, s3, v1
	v_cvt_f64_f32_e32 v[4:5], v4
	v_cvt_f64_f32_e32 v[2:3], v2
	global_store_dwordx2 v[0:1], v[6:7], off
	v_mul_f64 v[4:5], v[4:5], s[0:1]
	v_mul_f64 v[2:3], v[2:3], s[0:1]
	v_mad_u64_u32 v[0:1], s[0:1], s4, v67, v[0:1]
	v_cvt_f32_f64_e32 v4, v[4:5]
	v_cvt_f32_f64_e32 v5, v[2:3]
	v_add_u32_e32 v1, s2, v1
	global_store_dwordx2 v[0:1], v[4:5], off
.LBB0_2:
	s_endpgm
	.section	.rodata,"a",@progbits
	.p2align	6, 0x0
	.amdhsa_kernel bluestein_single_fwd_len784_dim1_sp_op_CI_CI
		.amdhsa_group_segment_fixed_size 6272
		.amdhsa_private_segment_fixed_size 0
		.amdhsa_kernarg_size 104
		.amdhsa_user_sgpr_count 2
		.amdhsa_user_sgpr_dispatch_ptr 0
		.amdhsa_user_sgpr_queue_ptr 0
		.amdhsa_user_sgpr_kernarg_segment_ptr 1
		.amdhsa_user_sgpr_dispatch_id 0
		.amdhsa_user_sgpr_kernarg_preload_length 0
		.amdhsa_user_sgpr_kernarg_preload_offset 0
		.amdhsa_user_sgpr_private_segment_size 0
		.amdhsa_uses_dynamic_stack 0
		.amdhsa_enable_private_segment 0
		.amdhsa_system_sgpr_workgroup_id_x 1
		.amdhsa_system_sgpr_workgroup_id_y 0
		.amdhsa_system_sgpr_workgroup_id_z 0
		.amdhsa_system_sgpr_workgroup_info 0
		.amdhsa_system_vgpr_workitem_id 0
		.amdhsa_next_free_vgpr 178
		.amdhsa_next_free_sgpr 22
		.amdhsa_accum_offset 180
		.amdhsa_reserve_vcc 1
		.amdhsa_float_round_mode_32 0
		.amdhsa_float_round_mode_16_64 0
		.amdhsa_float_denorm_mode_32 3
		.amdhsa_float_denorm_mode_16_64 3
		.amdhsa_dx10_clamp 1
		.amdhsa_ieee_mode 1
		.amdhsa_fp16_overflow 0
		.amdhsa_tg_split 0
		.amdhsa_exception_fp_ieee_invalid_op 0
		.amdhsa_exception_fp_denorm_src 0
		.amdhsa_exception_fp_ieee_div_zero 0
		.amdhsa_exception_fp_ieee_overflow 0
		.amdhsa_exception_fp_ieee_underflow 0
		.amdhsa_exception_fp_ieee_inexact 0
		.amdhsa_exception_int_div_zero 0
	.end_amdhsa_kernel
	.text
.Lfunc_end0:
	.size	bluestein_single_fwd_len784_dim1_sp_op_CI_CI, .Lfunc_end0-bluestein_single_fwd_len784_dim1_sp_op_CI_CI
                                        ; -- End function
	.section	.AMDGPU.csdata,"",@progbits
; Kernel info:
; codeLenInByte = 13280
; NumSgprs: 28
; NumVgprs: 178
; NumAgprs: 0
; TotalNumVgprs: 178
; ScratchSize: 0
; MemoryBound: 0
; FloatMode: 240
; IeeeMode: 1
; LDSByteSize: 6272 bytes/workgroup (compile time only)
; SGPRBlocks: 3
; VGPRBlocks: 22
; NumSGPRsForWavesPerEU: 28
; NumVGPRsForWavesPerEU: 178
; AccumOffset: 180
; Occupancy: 2
; WaveLimiterHint : 1
; COMPUTE_PGM_RSRC2:SCRATCH_EN: 0
; COMPUTE_PGM_RSRC2:USER_SGPR: 2
; COMPUTE_PGM_RSRC2:TRAP_HANDLER: 0
; COMPUTE_PGM_RSRC2:TGID_X_EN: 1
; COMPUTE_PGM_RSRC2:TGID_Y_EN: 0
; COMPUTE_PGM_RSRC2:TGID_Z_EN: 0
; COMPUTE_PGM_RSRC2:TIDIG_COMP_CNT: 0
; COMPUTE_PGM_RSRC3_GFX90A:ACCUM_OFFSET: 44
; COMPUTE_PGM_RSRC3_GFX90A:TG_SPLIT: 0
	.text
	.p2alignl 6, 3212836864
	.fill 256, 4, 3212836864
	.type	__hip_cuid_c07b69d6fdc2449c,@object ; @__hip_cuid_c07b69d6fdc2449c
	.section	.bss,"aw",@nobits
	.globl	__hip_cuid_c07b69d6fdc2449c
__hip_cuid_c07b69d6fdc2449c:
	.byte	0                               ; 0x0
	.size	__hip_cuid_c07b69d6fdc2449c, 1

	.ident	"AMD clang version 19.0.0git (https://github.com/RadeonOpenCompute/llvm-project roc-6.4.0 25133 c7fe45cf4b819c5991fe208aaa96edf142730f1d)"
	.section	".note.GNU-stack","",@progbits
	.addrsig
	.addrsig_sym __hip_cuid_c07b69d6fdc2449c
	.amdgpu_metadata
---
amdhsa.kernels:
  - .agpr_count:     0
    .args:
      - .actual_access:  read_only
        .address_space:  global
        .offset:         0
        .size:           8
        .value_kind:     global_buffer
      - .actual_access:  read_only
        .address_space:  global
        .offset:         8
        .size:           8
        .value_kind:     global_buffer
      - .actual_access:  read_only
        .address_space:  global
        .offset:         16
        .size:           8
        .value_kind:     global_buffer
      - .actual_access:  read_only
        .address_space:  global
        .offset:         24
        .size:           8
        .value_kind:     global_buffer
      - .actual_access:  read_only
        .address_space:  global
        .offset:         32
        .size:           8
        .value_kind:     global_buffer
      - .offset:         40
        .size:           8
        .value_kind:     by_value
      - .address_space:  global
        .offset:         48
        .size:           8
        .value_kind:     global_buffer
      - .address_space:  global
        .offset:         56
        .size:           8
        .value_kind:     global_buffer
      - .address_space:  global
        .offset:         64
        .size:           8
        .value_kind:     global_buffer
      - .address_space:  global
        .offset:         72
        .size:           8
        .value_kind:     global_buffer
      - .offset:         80
        .size:           4
        .value_kind:     by_value
      - .address_space:  global
        .offset:         88
        .size:           8
        .value_kind:     global_buffer
      - .address_space:  global
        .offset:         96
        .size:           8
        .value_kind:     global_buffer
    .group_segment_fixed_size: 6272
    .kernarg_segment_align: 8
    .kernarg_segment_size: 104
    .language:       OpenCL C
    .language_version:
      - 2
      - 0
    .max_flat_workgroup_size: 56
    .name:           bluestein_single_fwd_len784_dim1_sp_op_CI_CI
    .private_segment_fixed_size: 0
    .sgpr_count:     28
    .sgpr_spill_count: 0
    .symbol:         bluestein_single_fwd_len784_dim1_sp_op_CI_CI.kd
    .uniform_work_group_size: 1
    .uses_dynamic_stack: false
    .vgpr_count:     178
    .vgpr_spill_count: 0
    .wavefront_size: 64
amdhsa.target:   amdgcn-amd-amdhsa--gfx950
amdhsa.version:
  - 1
  - 2
...

	.end_amdgpu_metadata
